;; amdgpu-corpus repo=ROCm/rocFFT kind=compiled arch=gfx950 opt=O3
	.text
	.amdgcn_target "amdgcn-amd-amdhsa--gfx950"
	.amdhsa_code_object_version 6
	.protected	fft_rtc_back_len2002_factors_2_13_7_11_wgs_182_tpt_182_halfLds_dp_op_CI_CI_sbrr_dirReg ; -- Begin function fft_rtc_back_len2002_factors_2_13_7_11_wgs_182_tpt_182_halfLds_dp_op_CI_CI_sbrr_dirReg
	.globl	fft_rtc_back_len2002_factors_2_13_7_11_wgs_182_tpt_182_halfLds_dp_op_CI_CI_sbrr_dirReg
	.p2align	8
	.type	fft_rtc_back_len2002_factors_2_13_7_11_wgs_182_tpt_182_halfLds_dp_op_CI_CI_sbrr_dirReg,@function
fft_rtc_back_len2002_factors_2_13_7_11_wgs_182_tpt_182_halfLds_dp_op_CI_CI_sbrr_dirReg: ; @fft_rtc_back_len2002_factors_2_13_7_11_wgs_182_tpt_182_halfLds_dp_op_CI_CI_sbrr_dirReg
; %bb.0:
	s_load_dwordx4 s[12:15], s[0:1], 0x18
	s_load_dwordx4 s[8:11], s[0:1], 0x0
	;; [unrolled: 1-line block ×3, first 2 shown]
	v_mul_u32_u24_e32 v1, 0x169, v0
	v_add_u32_sdwa v6, s2, v1 dst_sel:DWORD dst_unused:UNUSED_PAD src0_sel:DWORD src1_sel:WORD_1
	s_waitcnt lgkmcnt(0)
	s_load_dwordx2 s[18:19], s[12:13], 0x0
	s_load_dwordx2 s[16:17], s[14:15], 0x0
	v_mov_b32_e32 v2, 0
	v_cmp_lt_u64_e64 s[2:3], s[10:11], 2
	v_mov_b32_e32 v7, v2
	s_and_b64 vcc, exec, s[2:3]
	v_mov_b64_e32 v[4:5], 0
	s_cbranch_vccnz .LBB0_8
; %bb.1:
	s_load_dwordx2 s[2:3], s[0:1], 0x10
	s_add_u32 s20, s14, 8
	s_addc_u32 s21, s15, 0
	s_add_u32 s22, s12, 8
	s_addc_u32 s23, s13, 0
	s_waitcnt lgkmcnt(0)
	s_add_u32 s24, s2, 8
	v_mov_b64_e32 v[4:5], 0
	s_addc_u32 s25, s3, 0
	s_mov_b64 s[26:27], 1
	v_mov_b64_e32 v[70:71], v[4:5]
.LBB0_2:                                ; =>This Inner Loop Header: Depth=1
	s_load_dwordx2 s[28:29], s[24:25], 0x0
                                        ; implicit-def: $vgpr72_vgpr73
	s_waitcnt lgkmcnt(0)
	v_or_b32_e32 v3, s29, v7
	v_cmp_ne_u64_e32 vcc, 0, v[2:3]
	s_and_saveexec_b64 s[2:3], vcc
	s_xor_b64 s[30:31], exec, s[2:3]
	s_cbranch_execz .LBB0_4
; %bb.3:                                ;   in Loop: Header=BB0_2 Depth=1
	v_cvt_f32_u32_e32 v1, s28
	v_cvt_f32_u32_e32 v3, s29
	s_sub_u32 s2, 0, s28
	s_subb_u32 s3, 0, s29
	v_fmac_f32_e32 v1, 0x4f800000, v3
	v_rcp_f32_e32 v1, v1
	s_nop 0
	v_mul_f32_e32 v1, 0x5f7ffffc, v1
	v_mul_f32_e32 v3, 0x2f800000, v1
	v_trunc_f32_e32 v3, v3
	v_fmac_f32_e32 v1, 0xcf800000, v3
	v_cvt_u32_f32_e32 v3, v3
	v_cvt_u32_f32_e32 v1, v1
	v_mul_lo_u32 v8, s2, v3
	v_mul_hi_u32 v10, s2, v1
	v_mul_lo_u32 v9, s3, v1
	v_add_u32_e32 v10, v10, v8
	v_mul_lo_u32 v12, s2, v1
	v_add_u32_e32 v13, v10, v9
	v_mul_hi_u32 v8, v1, v12
	v_mul_hi_u32 v11, v1, v13
	v_mul_lo_u32 v10, v1, v13
	v_mov_b32_e32 v9, v2
	v_lshl_add_u64 v[8:9], v[8:9], 0, v[10:11]
	v_mul_hi_u32 v11, v3, v12
	v_mul_lo_u32 v12, v3, v12
	v_add_co_u32_e32 v8, vcc, v8, v12
	v_mul_hi_u32 v10, v3, v13
	s_nop 0
	v_addc_co_u32_e32 v8, vcc, v9, v11, vcc
	v_mov_b32_e32 v9, v2
	s_nop 0
	v_addc_co_u32_e32 v11, vcc, 0, v10, vcc
	v_mul_lo_u32 v10, v3, v13
	v_lshl_add_u64 v[8:9], v[8:9], 0, v[10:11]
	v_add_co_u32_e32 v1, vcc, v1, v8
	v_mul_lo_u32 v10, s2, v1
	s_nop 0
	v_addc_co_u32_e32 v3, vcc, v3, v9, vcc
	v_mul_lo_u32 v8, s2, v3
	v_mul_hi_u32 v9, s2, v1
	v_add_u32_e32 v8, v9, v8
	v_mul_lo_u32 v9, s3, v1
	v_add_u32_e32 v12, v8, v9
	v_mul_hi_u32 v14, v3, v10
	v_mul_lo_u32 v15, v3, v10
	v_mul_hi_u32 v9, v1, v12
	v_mul_lo_u32 v8, v1, v12
	v_mul_hi_u32 v10, v1, v10
	v_mov_b32_e32 v11, v2
	v_lshl_add_u64 v[8:9], v[10:11], 0, v[8:9]
	v_add_co_u32_e32 v8, vcc, v8, v15
	v_mul_hi_u32 v13, v3, v12
	s_nop 0
	v_addc_co_u32_e32 v8, vcc, v9, v14, vcc
	v_mul_lo_u32 v10, v3, v12
	s_nop 0
	v_addc_co_u32_e32 v11, vcc, 0, v13, vcc
	v_mov_b32_e32 v9, v2
	v_lshl_add_u64 v[8:9], v[8:9], 0, v[10:11]
	v_add_co_u32_e32 v1, vcc, v1, v8
	v_mul_hi_u32 v10, v6, v1
	s_nop 0
	v_addc_co_u32_e32 v3, vcc, v3, v9, vcc
	v_mad_u64_u32 v[8:9], s[2:3], v6, v3, 0
	v_mov_b32_e32 v11, v2
	v_lshl_add_u64 v[8:9], v[10:11], 0, v[8:9]
	v_mad_u64_u32 v[12:13], s[2:3], v7, v1, 0
	v_add_co_u32_e32 v1, vcc, v8, v12
	v_mad_u64_u32 v[10:11], s[2:3], v7, v3, 0
	s_nop 0
	v_addc_co_u32_e32 v8, vcc, v9, v13, vcc
	v_mov_b32_e32 v9, v2
	s_nop 0
	v_addc_co_u32_e32 v11, vcc, 0, v11, vcc
	v_lshl_add_u64 v[8:9], v[8:9], 0, v[10:11]
	v_mul_lo_u32 v1, s29, v8
	v_mul_lo_u32 v3, s28, v9
	v_mad_u64_u32 v[10:11], s[2:3], s28, v8, 0
	v_add3_u32 v1, v11, v3, v1
	v_sub_u32_e32 v3, v7, v1
	v_mov_b32_e32 v11, s29
	v_sub_co_u32_e32 v14, vcc, v6, v10
	v_lshl_add_u64 v[12:13], v[8:9], 0, 1
	s_nop 0
	v_subb_co_u32_e64 v3, s[2:3], v3, v11, vcc
	v_subrev_co_u32_e64 v10, s[2:3], s28, v14
	v_subb_co_u32_e32 v1, vcc, v7, v1, vcc
	s_nop 0
	v_subbrev_co_u32_e64 v3, s[2:3], 0, v3, s[2:3]
	v_cmp_le_u32_e64 s[2:3], s29, v3
	v_cmp_le_u32_e32 vcc, s29, v1
	s_nop 0
	v_cndmask_b32_e64 v11, 0, -1, s[2:3]
	v_cmp_le_u32_e64 s[2:3], s28, v10
	s_nop 1
	v_cndmask_b32_e64 v10, 0, -1, s[2:3]
	v_cmp_eq_u32_e64 s[2:3], s29, v3
	s_nop 1
	v_cndmask_b32_e64 v3, v11, v10, s[2:3]
	v_lshl_add_u64 v[10:11], v[8:9], 0, 2
	v_cmp_ne_u32_e64 s[2:3], 0, v3
	s_nop 1
	v_cndmask_b32_e64 v3, v13, v11, s[2:3]
	v_cndmask_b32_e64 v11, 0, -1, vcc
	v_cmp_le_u32_e32 vcc, s28, v14
	s_nop 1
	v_cndmask_b32_e64 v13, 0, -1, vcc
	v_cmp_eq_u32_e32 vcc, s29, v1
	s_nop 1
	v_cndmask_b32_e32 v1, v11, v13, vcc
	v_cmp_ne_u32_e32 vcc, 0, v1
	v_cndmask_b32_e64 v1, v12, v10, s[2:3]
	s_nop 0
	v_cndmask_b32_e32 v73, v9, v3, vcc
	v_cndmask_b32_e32 v72, v8, v1, vcc
.LBB0_4:                                ;   in Loop: Header=BB0_2 Depth=1
	s_andn2_saveexec_b64 s[2:3], s[30:31]
	s_cbranch_execz .LBB0_6
; %bb.5:                                ;   in Loop: Header=BB0_2 Depth=1
	v_cvt_f32_u32_e32 v1, s28
	s_sub_i32 s30, 0, s28
	v_mov_b32_e32 v73, v2
	v_rcp_iflag_f32_e32 v1, v1
	s_nop 0
	v_mul_f32_e32 v1, 0x4f7ffffe, v1
	v_cvt_u32_f32_e32 v1, v1
	v_mul_lo_u32 v3, s30, v1
	v_mul_hi_u32 v3, v1, v3
	v_add_u32_e32 v1, v1, v3
	v_mul_hi_u32 v1, v6, v1
	v_mul_lo_u32 v3, v1, s28
	v_sub_u32_e32 v3, v6, v3
	v_add_u32_e32 v8, 1, v1
	v_subrev_u32_e32 v9, s28, v3
	v_cmp_le_u32_e32 vcc, s28, v3
	s_nop 1
	v_cndmask_b32_e32 v3, v3, v9, vcc
	v_cndmask_b32_e32 v1, v1, v8, vcc
	v_add_u32_e32 v8, 1, v1
	v_cmp_le_u32_e32 vcc, s28, v3
	s_nop 1
	v_cndmask_b32_e32 v72, v1, v8, vcc
.LBB0_6:                                ;   in Loop: Header=BB0_2 Depth=1
	s_or_b64 exec, exec, s[2:3]
	v_mad_u64_u32 v[8:9], s[2:3], v72, s28, 0
	s_load_dwordx2 s[2:3], s[22:23], 0x0
	v_mul_lo_u32 v1, v73, s28
	v_mul_lo_u32 v3, v72, s29
	s_load_dwordx2 s[28:29], s[20:21], 0x0
	s_add_u32 s26, s26, 1
	v_add3_u32 v1, v9, v3, v1
	v_sub_co_u32_e32 v3, vcc, v6, v8
	s_addc_u32 s27, s27, 0
	s_nop 0
	v_subb_co_u32_e32 v1, vcc, v7, v1, vcc
	s_add_u32 s20, s20, 8
	s_waitcnt lgkmcnt(0)
	v_mul_lo_u32 v6, s2, v1
	v_mul_lo_u32 v7, s3, v3
	v_mad_u64_u32 v[4:5], s[2:3], s2, v3, v[4:5]
	s_addc_u32 s21, s21, 0
	v_add3_u32 v5, v7, v5, v6
	v_mul_lo_u32 v1, s28, v1
	v_mul_lo_u32 v6, s29, v3
	v_mad_u64_u32 v[70:71], s[2:3], s28, v3, v[70:71]
	s_add_u32 s22, s22, 8
	v_add3_u32 v71, v6, v71, v1
	s_addc_u32 s23, s23, 0
	v_mov_b64_e32 v[6:7], s[10:11]
	s_add_u32 s24, s24, 8
	v_cmp_ge_u64_e32 vcc, s[26:27], v[6:7]
	s_addc_u32 s25, s25, 0
	s_cbranch_vccnz .LBB0_9
; %bb.7:                                ;   in Loop: Header=BB0_2 Depth=1
	v_mov_b64_e32 v[6:7], v[72:73]
	s_branch .LBB0_2
.LBB0_8:
	v_mov_b64_e32 v[70:71], v[4:5]
	v_mov_b64_e32 v[72:73], v[6:7]
.LBB0_9:
	s_load_dwordx2 s[0:1], s[0:1], 0x28
	s_lshl_b64 s[20:21], s[10:11], 3
	s_add_u32 s10, s14, s20
	s_addc_u32 s11, s15, s21
                                        ; implicit-def: $sgpr14
                                        ; implicit-def: $vgpr155
                                        ; implicit-def: $vgpr159
                                        ; implicit-def: $vgpr156
                                        ; implicit-def: $vgpr157
                                        ; implicit-def: $vgpr158
	s_waitcnt lgkmcnt(0)
	v_cmp_gt_u64_e32 vcc, s[0:1], v[72:73]
	v_cmp_le_u64_e64 s[0:1], s[0:1], v[72:73]
	s_and_saveexec_b64 s[2:3], s[0:1]
	s_xor_b64 s[0:1], exec, s[2:3]
; %bb.10:
	s_mov_b32 s2, 0x1681682
	v_mul_hi_u32 v1, v0, s2
	v_mul_u32_u24_e32 v1, 0xb6, v1
	v_sub_u32_e32 v155, v0, v1
	v_add_u32_e32 v159, 0xb6, v155
	v_add_u32_e32 v156, 0x16c, v155
	;; [unrolled: 1-line block ×4, first 2 shown]
	s_mov_b32 s14, 0
                                        ; implicit-def: $vgpr0
                                        ; implicit-def: $vgpr4_vgpr5
; %bb.11:
	s_or_saveexec_b64 s[2:3], s[0:1]
	s_load_dwordx2 s[10:11], s[10:11], 0x0
	v_mov_b32_e32 v154, s14
                                        ; implicit-def: $vgpr68_vgpr69
                                        ; implicit-def: $vgpr64_vgpr65
                                        ; implicit-def: $vgpr60_vgpr61
                                        ; implicit-def: $vgpr56_vgpr57
                                        ; implicit-def: $vgpr52_vgpr53
                                        ; implicit-def: $vgpr48_vgpr49
                                        ; implicit-def: $vgpr44_vgpr45
                                        ; implicit-def: $vgpr40_vgpr41
                                        ; implicit-def: $vgpr36_vgpr37
                                        ; implicit-def: $vgpr32_vgpr33
                                        ; implicit-def: $vgpr2_vgpr3
                                        ; implicit-def: $vgpr28_vgpr29
	s_xor_b64 exec, exec, s[2:3]
	s_cbranch_execz .LBB0_15
; %bb.12:
	s_add_u32 s0, s12, s20
	s_addc_u32 s1, s13, s21
	s_load_dwordx2 s[0:1], s[0:1], 0x0
	s_mov_b32 s12, 0x1681682
                                        ; implicit-def: $vgpr62_vgpr63
                                        ; implicit-def: $vgpr66_vgpr67
	s_waitcnt lgkmcnt(0)
	v_mul_lo_u32 v1, s1, v72
	v_mul_lo_u32 v6, s0, v73
	v_mad_u64_u32 v[2:3], s[0:1], s0, v72, 0
	v_add3_u32 v3, v3, v6, v1
	v_mul_hi_u32 v1, v0, s12
	v_mul_u32_u24_e32 v1, 0xb6, v1
	v_sub_u32_e32 v155, v0, v1
	v_mad_u64_u32 v[0:1], s[0:1], s18, v155, 0
	v_mov_b32_e32 v6, v1
	v_mad_u64_u32 v[6:7], s[0:1], s19, v155, v[6:7]
	v_lshl_add_u64 v[2:3], v[2:3], 4, s[4:5]
	v_mov_b32_e32 v1, v6
	v_lshl_add_u64 v[4:5], v[4:5], 4, v[2:3]
	v_add_u32_e32 v3, 0x3e9, v155
	v_lshl_add_u64 v[6:7], v[0:1], 4, v[4:5]
	v_mad_u64_u32 v[0:1], s[0:1], s18, v3, 0
	v_mov_b32_e32 v2, v1
	v_mad_u64_u32 v[2:3], s[0:1], s19, v3, v[2:3]
	v_mov_b32_e32 v1, v2
	v_add_u32_e32 v159, 0xb6, v155
	v_lshl_add_u64 v[8:9], v[0:1], 4, v[4:5]
	global_load_dwordx4 v[26:29], v[6:7], off
	global_load_dwordx4 v[0:3], v[8:9], off
	v_mad_u64_u32 v[6:7], s[0:1], s18, v159, 0
	v_mov_b32_e32 v8, v7
	v_mad_u64_u32 v[8:9], s[0:1], s19, v159, v[8:9]
	v_add_u32_e32 v11, 0x49f, v155
	v_mov_b32_e32 v7, v8
	v_mad_u64_u32 v[8:9], s[0:1], s18, v11, 0
	v_mov_b32_e32 v10, v9
	v_mad_u64_u32 v[10:11], s[0:1], s19, v11, v[10:11]
	v_lshl_add_u64 v[6:7], v[6:7], 4, v[4:5]
	v_mov_b32_e32 v9, v10
	v_add_u32_e32 v156, 0x16c, v155
	v_lshl_add_u64 v[8:9], v[8:9], 4, v[4:5]
	global_load_dwordx4 v[30:33], v[6:7], off
	global_load_dwordx4 v[34:37], v[8:9], off
	v_mad_u64_u32 v[6:7], s[0:1], s18, v156, 0
	v_mov_b32_e32 v8, v7
	v_mad_u64_u32 v[8:9], s[0:1], s19, v156, v[8:9]
	v_add_u32_e32 v11, 0x555, v155
	v_mov_b32_e32 v7, v8
	v_mad_u64_u32 v[8:9], s[0:1], s18, v11, 0
	v_mov_b32_e32 v10, v9
	v_mad_u64_u32 v[10:11], s[0:1], s19, v11, v[10:11]
	v_lshl_add_u64 v[6:7], v[6:7], 4, v[4:5]
	;; [unrolled: 14-line block ×4, first 2 shown]
	v_mov_b32_e32 v9, v10
	v_lshl_add_u64 v[8:9], v[8:9], 4, v[4:5]
	global_load_dwordx4 v[54:57], v[6:7], off
	global_load_dwordx4 v[58:61], v[8:9], off
	s_movk_i32 s0, 0x5b
	v_cmp_gt_u32_e64 s[0:1], s0, v155
	s_and_saveexec_b64 s[4:5], s[0:1]
	s_cbranch_execz .LBB0_14
; %bb.13:
	v_add_u32_e32 v9, 0x38e, v155
	v_mad_u64_u32 v[6:7], s[0:1], s18, v9, 0
	v_mov_b32_e32 v8, v7
	v_mad_u64_u32 v[8:9], s[0:1], s19, v9, v[8:9]
	v_add_u32_e32 v11, 0x777, v155
	v_mov_b32_e32 v7, v8
	v_mad_u64_u32 v[8:9], s[0:1], s18, v11, 0
	v_mov_b32_e32 v10, v9
	v_mad_u64_u32 v[10:11], s[0:1], s19, v11, v[10:11]
	v_lshl_add_u64 v[6:7], v[6:7], 4, v[4:5]
	v_mov_b32_e32 v9, v10
	v_lshl_add_u64 v[4:5], v[8:9], 4, v[4:5]
	global_load_dwordx4 v[62:65], v[6:7], off
	global_load_dwordx4 v[66:69], v[4:5], off
.LBB0_14:
	s_or_b64 exec, exec, s[4:5]
	v_mov_b32_e32 v154, v155
.LBB0_15:
	s_or_b64 exec, exec, s[2:3]
	s_waitcnt vmcnt(8)
	v_add_f64 v[6:7], v[26:27], -v[0:1]
	v_fma_f64 v[4:5], v[26:27], 2.0, -v[6:7]
	s_waitcnt vmcnt(6)
	v_add_f64 v[10:11], v[30:31], -v[34:35]
	s_waitcnt vmcnt(4)
	v_add_f64 v[14:15], v[38:39], -v[42:43]
	;; [unrolled: 2-line block ×4, first 2 shown]
	v_add_f64 v[26:27], v[62:63], -v[66:67]
	s_movk_i32 s0, 0x5b
	v_add_u32_e32 v0, 0x38e, v155
	v_fma_f64 v[8:9], v[30:31], 2.0, -v[10:11]
	v_fma_f64 v[12:13], v[38:39], 2.0, -v[14:15]
	;; [unrolled: 1-line block ×5, first 2 shown]
	v_lshl_add_u32 v50, v155, 4, 0
	v_lshl_add_u32 v55, v159, 4, 0
	;; [unrolled: 1-line block ×5, first 2 shown]
	v_cmp_gt_u32_e64 s[2:3], s0, v155
	v_lshl_add_u32 v54, v0, 4, 0
	ds_write_b128 v50, v[4:7]
	ds_write_b128 v55, v[8:11]
	;; [unrolled: 1-line block ×5, first 2 shown]
	s_and_saveexec_b64 s[0:1], s[2:3]
	s_cbranch_execz .LBB0_17
; %bb.16:
	ds_write_b128 v54, v[24:27]
.LBB0_17:
	s_or_b64 exec, exec, s[0:1]
	s_movk_i32 s0, 0x9a
	v_cmp_gt_u32_e64 s[0:1], s0, v155
	v_lshlrev_b32_e32 v51, 3, v155
	s_waitcnt lgkmcnt(0)
	s_barrier
	s_waitcnt lgkmcnt(0)
                                        ; implicit-def: $vgpr74_vgpr75
	s_and_saveexec_b64 s[4:5], s[0:1]
	s_cbranch_execz .LBB0_19
; %bb.18:
	v_sub_u32_e32 v0, v50, v51
	v_add_u32_e32 v1, 0x800, v0
	ds_read2_b64 v[8:11], v1 offset0:52 offset1:206
	v_add_u32_e32 v1, 0x1200, v0
	ds_read2_b64 v[12:15], v1 offset0:40 offset1:194
	;; [unrolled: 2-line block ×4, first 2 shown]
	v_add_u32_e32 v1, 0x3000, v0
	ds_read2_b64 v[4:7], v0 offset1:154
	ds_read2_b64 v[24:27], v1 offset0:4 offset1:158
	ds_read_b64 v[74:75], v0 offset:14784
.LBB0_19:
	s_or_b64 exec, exec, s[4:5]
	v_add_f64 v[2:3], v[28:29], -v[2:3]
	v_add_f64 v[30:31], v[32:33], -v[36:37]
	;; [unrolled: 1-line block ×6, first 2 shown]
	v_fma_f64 v[0:1], v[28:29], 2.0, -v[2:3]
	v_fma_f64 v[28:29], v[32:33], 2.0, -v[30:31]
	;; [unrolled: 1-line block ×6, first 2 shown]
	s_waitcnt lgkmcnt(0)
	s_barrier
	ds_write_b128 v50, v[0:3]
	ds_write_b128 v55, v[28:31]
	ds_write_b128 v58, v[32:35]
	ds_write_b128 v59, v[36:39]
	ds_write_b128 v62, v[40:43]
	s_and_saveexec_b64 s[4:5], s[2:3]
	s_cbranch_execz .LBB0_21
; %bb.20:
	ds_write_b128 v54, v[44:47]
.LBB0_21:
	s_or_b64 exec, exec, s[4:5]
	s_waitcnt lgkmcnt(0)
	s_barrier
	s_waitcnt lgkmcnt(0)
                                        ; implicit-def: $vgpr88_vgpr89
	s_and_saveexec_b64 s[2:3], s[0:1]
	s_cbranch_execz .LBB0_23
; %bb.22:
	v_sub_u32_e32 v48, v50, v51
	v_add_u32_e32 v28, 0x800, v48
	v_add_u32_e32 v32, 0x1200, v48
	;; [unrolled: 1-line block ×5, first 2 shown]
	ds_read2_b64 v[0:3], v48 offset1:154
	ds_read2_b64 v[28:31], v28 offset0:52 offset1:206
	ds_read2_b64 v[32:35], v32 offset0:40 offset1:194
	;; [unrolled: 1-line block ×5, first 2 shown]
	ds_read_b64 v[88:89], v48 offset:14784
.LBB0_23:
	s_or_b64 exec, exec, s[2:3]
	v_and_b32_e32 v162, 1, v155
	v_mul_u32_u24_e32 v48, 12, v162
	v_lshlrev_b32_e32 v60, 4, v48
	global_load_dwordx4 v[48:51], v60, s[8:9] offset:16
	global_load_dwordx4 v[52:55], v60, s[8:9] offset:32
	;; [unrolled: 1-line block ×10, first 2 shown]
	global_load_dwordx4 v[118:121], v60, s[8:9]
	global_load_dwordx4 v[122:125], v60, s[8:9] offset:176
	s_mov_b32 s18, 0x42a4c3d2
	s_mov_b32 s2, 0xe00740e9
	;; [unrolled: 1-line block ×30, first 2 shown]
	v_lshrrev_b32_e32 v163, 1, v155
	s_waitcnt lgkmcnt(0)
	s_barrier
	s_waitcnt vmcnt(11)
	v_mul_f64 v[80:81], v[28:29], v[50:51]
	v_mul_f64 v[50:51], v[8:9], v[50:51]
	s_waitcnt vmcnt(10)
	v_mul_f64 v[76:77], v[30:31], v[54:55]
	v_mul_f64 v[54:55], v[10:11], v[54:55]
	v_fmac_f64_e32 v[80:81], v[8:9], v[48:49]
	v_fma_f64 v[48:49], v[28:29], v[48:49], -v[50:51]
	v_fmac_f64_e32 v[76:77], v[10:11], v[52:53]
	v_fma_f64 v[50:51], v[30:31], v[52:53], -v[54:55]
	s_waitcnt vmcnt(9)
	v_mul_f64 v[66:67], v[32:33], v[58:59]
	s_waitcnt vmcnt(2)
	v_mul_f64 v[82:83], v[46:47], v[116:117]
	;; [unrolled: 2-line block ×3, first 2 shown]
	v_mul_f64 v[120:121], v[6:7], v[120:121]
	s_waitcnt vmcnt(0)
	v_mul_f64 v[86:87], v[88:89], v[124:125]
	v_mul_f64 v[124:125], v[74:75], v[124:125]
	;; [unrolled: 1-line block ×3, first 2 shown]
	v_fma_f64 v[54:55], v[2:3], v[118:119], -v[120:121]
	v_fma_f64 v[52:53], v[88:89], v[122:123], -v[124:125]
	v_mul_f64 v[126:127], v[12:13], v[58:59]
	v_mul_f64 v[58:59], v[36:37], v[96:97]
	;; [unrolled: 1-line block ×5, first 2 shown]
	v_fma_f64 v[46:47], v[46:47], v[114:115], -v[116:117]
	v_fmac_f64_e32 v[84:85], v[6:7], v[118:119]
	v_fmac_f64_e32 v[86:87], v[74:75], v[122:123]
	v_add_f64 v[2:3], v[54:55], -v[52:53]
	v_mul_f64 v[96:97], v[16:17], v[96:97]
	v_mul_f64 v[60:61], v[38:39], v[100:101]
	;; [unrolled: 1-line block ×3, first 2 shown]
	v_fmac_f64_e32 v[58:59], v[16:17], v[94:95]
	v_fmac_f64_e32 v[64:65], v[20:21], v[102:103]
	v_fma_f64 v[42:43], v[42:43], v[106:107], -v[108:109]
	v_fmac_f64_e32 v[82:83], v[26:27], v[114:115]
	v_add_f64 v[108:109], v[84:85], v[86:87]
	v_add_f64 v[6:7], v[48:49], -v[46:47]
	v_mul_f64 v[16:17], v[2:3], s[14:15]
	v_mul_f64 v[20:21], v[2:3], s[18:19]
	;; [unrolled: 1-line block ×5, first 2 shown]
	v_fmac_f64_e32 v[66:67], v[12:13], v[56:57]
	v_fmac_f64_e32 v[60:61], v[18:19], v[98:99]
	v_fma_f64 v[40:41], v[40:41], v[102:103], -v[104:105]
	v_fmac_f64_e32 v[68:69], v[22:23], v[106:107]
	v_add_f64 v[104:105], v[80:81], v[82:83]
	v_mul_f64 v[18:19], v[6:7], s[18:19]
	v_mul_f64 v[22:23], v[6:7], s[26:27]
	v_fma_f64 v[8:9], v[108:109], s[2:3], -v[16:17]
	v_fma_f64 v[12:13], v[108:109], s[4:5], -v[20:21]
	v_mul_f64 v[92:93], v[14:15], v[92:93]
	v_mul_f64 v[112:113], v[24:25], v[112:113]
	v_fmac_f64_e32 v[62:63], v[14:15], v[90:91]
	v_fmac_f64_e32 v[78:79], v[24:25], v[110:111]
	v_fma_f64 v[10:11], v[104:105], s[4:5], -v[18:19]
	v_fma_f64 v[14:15], v[104:105], s[12:13], -v[22:23]
	v_add_f64 v[8:9], v[4:5], v[8:9]
	v_add_f64 v[12:13], v[4:5], v[12:13]
	v_mul_f64 v[24:25], v[2:3], s[36:37]
	v_add_f64 v[8:9], v[10:11], v[8:9]
	v_add_f64 v[10:11], v[14:15], v[12:13]
	v_fma_f64 v[12:13], v[108:109], s[24:25], -v[24:25]
	v_mul_f64 v[26:27], v[6:7], s[28:29]
	v_add_f64 v[12:13], v[4:5], v[12:13]
	v_fma_f64 v[14:15], v[104:105], s[20:21], -v[26:27]
	v_mul_f64 v[30:31], v[2:3], s[26:27]
	v_fma_f64 v[32:33], v[32:33], v[56:57], -v[126:127]
	v_fma_f64 v[44:45], v[44:45], v[110:111], -v[112:113]
	v_add_f64 v[12:13], v[14:15], v[12:13]
	v_fma_f64 v[14:15], v[108:109], s[12:13], -v[30:31]
	v_mul_f64 v[56:57], v[6:7], s[38:39]
	v_mul_f64 v[112:113], v[2:3], s[28:29]
	s_mov_b32 s15, 0x3fddbe06
	v_fma_f64 v[34:35], v[34:35], v[90:91], -v[92:93]
	v_add_f64 v[14:15], v[4:5], v[14:15]
	v_fma_f64 v[28:29], v[104:105], s[22:23], -v[56:57]
	v_mul_f64 v[90:91], v[2:3], s[30:31]
	v_fma_f64 v[2:3], v[108:109], s[20:21], -v[112:113]
	v_mul_f64 v[118:119], v[6:7], s[14:15]
	v_add_f64 v[14:15], v[28:29], v[14:15]
	v_fma_f64 v[28:29], v[108:109], s[22:23], -v[90:91]
	v_mul_f64 v[92:93], v[6:7], s[34:35]
	v_add_f64 v[2:3], v[4:5], v[2:3]
	v_fma_f64 v[6:7], v[104:105], s[2:3], -v[118:119]
	v_add_f64 v[28:29], v[4:5], v[28:29]
	v_fma_f64 v[74:75], v[104:105], s[24:25], -v[92:93]
	v_add_f64 v[2:3], v[6:7], v[2:3]
	v_add_f64 v[6:7], v[50:51], -v[44:45]
	v_add_f64 v[88:89], v[74:75], v[28:29]
	v_add_f64 v[122:123], v[76:77], v[78:79]
	v_mul_f64 v[28:29], v[6:7], s[36:37]
	v_fma_f64 v[74:75], v[122:123], s[24:25], -v[28:29]
	v_add_f64 v[8:9], v[74:75], v[8:9]
	v_mul_f64 v[74:75], v[6:7], s[28:29]
	v_fma_f64 v[36:37], v[36:37], v[94:95], -v[96:97]
	v_fma_f64 v[94:95], v[122:123], s[20:21], -v[74:75]
	v_add_f64 v[10:11], v[94:95], v[10:11]
	v_mul_f64 v[94:95], v[6:7], s[40:41]
	v_fma_f64 v[38:39], v[38:39], v[98:99], -v[100:101]
	v_fma_f64 v[96:97], v[122:123], s[12:13], -v[94:95]
	v_mul_f64 v[98:99], v[6:7], s[14:15]
	v_mul_f64 v[132:133], v[6:7], s[30:31]
	v_add_f64 v[12:13], v[96:97], v[12:13]
	v_fma_f64 v[96:97], v[122:123], s[2:3], -v[98:99]
	v_mul_f64 v[106:107], v[6:7], s[18:19]
	v_fma_f64 v[6:7], v[122:123], s[22:23], -v[132:133]
	v_add_f64 v[14:15], v[96:97], v[14:15]
	v_fma_f64 v[96:97], v[122:123], s[4:5], -v[106:107]
	v_add_f64 v[2:3], v[6:7], v[2:3]
	v_add_f64 v[6:7], v[32:33], -v[42:43]
	v_add_f64 v[100:101], v[96:97], v[88:89]
	v_add_f64 v[128:129], v[66:67], v[68:69]
	v_mul_f64 v[88:89], v[6:7], s[26:27]
	v_fma_f64 v[96:97], v[128:129], s[12:13], -v[88:89]
	v_add_f64 v[8:9], v[96:97], v[8:9]
	v_mul_f64 v[96:97], v[6:7], s[38:39]
	v_fma_f64 v[102:103], v[128:129], s[22:23], -v[96:97]
	v_add_f64 v[10:11], v[102:103], v[10:11]
	v_mul_f64 v[102:103], v[6:7], s[14:15]
	s_mov_b32 s39, 0x3fea55e2
	s_mov_b32 s38, s18
	v_fma_f64 v[110:111], v[128:129], s[2:3], -v[102:103]
	v_mul_f64 v[114:115], v[6:7], s[36:37]
	s_mov_b32 s37, 0x3fcea1e5
	s_mov_b32 s36, s28
	v_mul_f64 v[144:145], v[6:7], s[38:39]
	v_add_f64 v[12:13], v[110:111], v[12:13]
	v_fma_f64 v[110:111], v[128:129], s[24:25], -v[114:115]
	v_mul_f64 v[126:127], v[6:7], s[36:37]
	v_fma_f64 v[6:7], v[128:129], s[4:5], -v[144:145]
	v_add_f64 v[14:15], v[110:111], v[14:15]
	v_fma_f64 v[110:111], v[128:129], s[20:21], -v[126:127]
	v_add_f64 v[2:3], v[6:7], v[2:3]
	v_add_f64 v[6:7], v[34:35], -v[40:41]
	v_add_f64 v[116:117], v[110:111], v[100:101]
	v_add_f64 v[136:137], v[62:63], v[64:65]
	v_mul_f64 v[100:101], v[6:7], s[30:31]
	v_fma_f64 v[110:111], v[136:137], s[22:23], -v[100:101]
	v_add_f64 v[8:9], v[110:111], v[8:9]
	v_mul_f64 v[110:111], v[6:7], s[34:35]
	v_fma_f64 v[120:121], v[136:137], s[24:25], -v[110:111]
	;; [unrolled: 3-line block ×3, first 2 shown]
	v_mul_f64 v[130:131], v[6:7], s[36:37]
	v_add_f64 v[12:13], v[124:125], v[12:13]
	v_fma_f64 v[124:125], v[136:137], s[20:21], -v[130:131]
	v_mul_f64 v[138:139], v[6:7], s[14:15]
	v_add_f64 v[14:15], v[124:125], v[14:15]
	v_fma_f64 v[124:125], v[136:137], s[2:3], -v[138:139]
	v_mul_f64 v[148:149], v[6:7], s[26:27]
	v_add_f64 v[152:153], v[36:37], -v[38:39]
	v_add_f64 v[150:151], v[124:125], v[116:117]
	v_fma_f64 v[6:7], v[136:137], s[12:13], -v[148:149]
	v_add_f64 v[140:141], v[58:59], v[60:61]
	v_mul_f64 v[116:117], v[152:153], s[28:29]
	v_add_f64 v[2:3], v[6:7], v[2:3]
	v_fma_f64 v[6:7], v[140:141], s[20:21], -v[116:117]
	v_mul_f64 v[124:125], v[152:153], s[14:15]
	v_add_f64 v[6:7], v[6:7], v[8:9]
	v_fma_f64 v[8:9], v[140:141], s[2:3], -v[124:125]
	;; [unrolled: 3-line block ×5, first 2 shown]
	v_add_f64 v[14:15], v[14:15], v[150:151]
	v_mul_f64 v[150:151], v[152:153], s[34:35]
	v_fma_f64 v[152:153], v[140:141], s[24:25], -v[150:151]
	v_add_f64 v[2:3], v[152:153], v[2:3]
	s_and_saveexec_b64 s[14:15], s[0:1]
	s_cbranch_execz .LBB0_25
; %bb.24:
	v_mul_f64 v[188:189], v[140:141], s[24:25]
	v_mul_f64 v[152:153], v[108:109], s[2:3]
	;; [unrolled: 1-line block ×7, first 2 shown]
	v_add_f64 v[150:151], v[188:189], v[150:151]
	v_mul_f64 v[188:189], v[136:137], s[12:13]
	v_mul_f64 v[170:171], v[104:105], s[4:5]
	;; [unrolled: 1-line block ×7, first 2 shown]
	v_add_f64 v[148:149], v[188:189], v[148:149]
	v_mul_f64 v[188:189], v[128:129], s[4:5]
	v_add_f64 v[108:109], v[108:109], v[112:113]
	v_mul_f64 v[180:181], v[122:123], s[24:25]
	v_mul_f64 v[182:183], v[122:123], s[20:21]
	;; [unrolled: 1-line block ×4, first 2 shown]
	v_add_f64 v[144:145], v[188:189], v[144:145]
	v_mul_f64 v[188:189], v[122:123], s[4:5]
	v_mul_f64 v[122:123], v[122:123], s[22:23]
	v_add_f64 v[104:105], v[104:105], v[118:119]
	v_add_f64 v[108:109], v[4:5], v[108:109]
	;; [unrolled: 1-line block ×19, first 2 shown]
	v_mul_f64 v[108:109], v[128:129], s[24:25]
	v_add_f64 v[104:105], v[150:151], v[104:105]
	v_mul_f64 v[150:151], v[140:141], s[12:13]
	v_add_f64 v[92:93], v[178:179], v[92:93]
	v_add_f64 v[98:99], v[186:187], v[98:99]
	;; [unrolled: 1-line block ×4, first 2 shown]
	v_mul_f64 v[132:133], v[128:129], s[12:13]
	v_mul_f64 v[118:119], v[128:129], s[22:23]
	;; [unrolled: 1-line block ×7, first 2 shown]
	v_add_f64 v[146:147], v[150:151], v[146:147]
	v_mul_f64 v[150:151], v[136:137], s[20:21]
	v_mul_f64 v[136:137], v[136:137], s[2:3]
	v_add_f64 v[106:107], v[188:189], v[106:107]
	v_add_f64 v[90:91], v[92:93], v[90:91]
	;; [unrolled: 1-line block ×7, first 2 shown]
	v_mul_f64 v[138:139], v[140:141], s[20:21]
	v_add_f64 v[126:127], v[128:129], v[126:127]
	v_mul_f64 v[128:129], v[140:141], s[2:3]
	v_mul_f64 v[188:189], v[140:141], s[22:23]
	;; [unrolled: 1-line block ×3, first 2 shown]
	v_add_f64 v[90:91], v[106:107], v[90:91]
	v_add_f64 v[106:107], v[150:151], v[130:131]
	;; [unrolled: 1-line block ×39, first 2 shown]
	v_mul_u32_u24_e32 v18, 26, v163
	v_add_f64 v[90:91], v[126:127], v[90:91]
	v_add_f64 v[22:23], v[138:139], v[116:117]
	;; [unrolled: 1-line block ×4, first 2 shown]
	v_or_b32_e32 v18, v18, v162
	v_add_f64 v[90:91], v[136:137], v[90:91]
	v_add_f64 v[16:17], v[22:23], v[16:17]
	;; [unrolled: 1-line block ×3, first 2 shown]
	v_lshl_add_u32 v18, v18, 3, 0
	v_add_f64 v[90:91], v[146:147], v[90:91]
	ds_write2_b64 v18, v[4:5], v[16:17] offset1:2
	ds_write2_b64 v18, v[20:21], v[24:25] offset0:4 offset1:6
	ds_write2_b64 v18, v[30:31], v[90:91] offset0:8 offset1:10
	;; [unrolled: 1-line block ×5, first 2 shown]
	ds_write_b64 v18, v[6:7] offset:192
.LBB0_25:
	s_or_b64 exec, exec, s[14:15]
	v_lshl_add_u32 v161, v155, 3, 0
	s_waitcnt lgkmcnt(0)
	s_barrier
	ds_read_b64 v[4:5], v161
	ds_read_b64 v[30:31], v161 offset:2288
	ds_read_b64 v[28:29], v161 offset:4576
	;; [unrolled: 1-line block ×6, first 2 shown]
	s_movk_i32 s2, 0x68
	v_cmp_gt_u32_e64 s[2:3], s2, v155
	v_lshl_add_u32 v160, v159, 3, 0
                                        ; implicit-def: $vgpr20_vgpr21
	s_and_saveexec_b64 s[4:5], s[2:3]
	s_cbranch_execz .LBB0_27
; %bb.26:
	ds_read_b64 v[14:15], v161 offset:3744
	ds_read_b64 v[12:13], v161 offset:6032
	;; [unrolled: 1-line block ×5, first 2 shown]
	ds_read_b64 v[2:3], v160
	ds_read_b64 v[20:21], v161 offset:15184
.LBB0_27:
	s_or_b64 exec, exec, s[4:5]
	s_mov_b32 s20, 0xe00740e9
	v_add_f64 v[16:17], v[54:55], v[52:53]
	s_mov_b32 s21, 0x3fec55a7
	s_mov_b32 s12, 0x4267c47c
	;; [unrolled: 1-line block ×3, first 2 shown]
	v_add_f64 v[90:91], v[84:85], -v[86:87]
	v_mul_f64 v[74:75], v[16:17], s[20:21]
	s_mov_b32 s13, 0xbfddbe06
	s_mov_b32 s25, 0x3fe22d96
	;; [unrolled: 1-line block ×3, first 2 shown]
	v_add_f64 v[104:105], v[48:49], v[46:47]
	v_fma_f64 v[56:57], s[12:13], v[90:91], v[74:75]
	s_mov_b32 s5, 0xbfea55e2
	s_mov_b32 s30, 0xb2365da1
	v_add_f64 v[132:133], v[80:81], -v[82:83]
	v_mul_f64 v[80:81], v[104:105], s[24:25]
	v_add_f64 v[56:57], v[0:1], v[56:57]
	v_mul_f64 v[84:85], v[16:17], s[24:25]
	s_mov_b32 s26, 0xebaa3ed8
	s_mov_b32 s31, 0xbfd6b1d8
	;; [unrolled: 1-line block ×3, first 2 shown]
	v_fma_f64 v[82:83], s[4:5], v[132:133], v[80:81]
	v_fma_f64 v[86:87], s[4:5], v[90:91], v[84:85]
	s_mov_b32 s27, 0x3fbedb7d
	s_mov_b32 s14, 0x66966769
	;; [unrolled: 1-line block ×4, first 2 shown]
	v_add_f64 v[56:57], v[82:83], v[56:57]
	v_mul_f64 v[82:83], v[104:105], s[30:31]
	v_add_f64 v[96:97], v[0:1], v[86:87]
	v_mul_f64 v[86:87], v[16:17], s[26:27]
	s_mov_b32 s15, 0xbfefc445
	s_mov_b32 s43, 0xbfef11f4
	v_fma_f64 v[106:107], s[18:19], v[132:133], v[82:83]
	v_fma_f64 v[88:89], s[14:15], v[90:91], v[86:87]
	s_mov_b32 s40, 0xd0032e0c
	v_add_f64 v[106:107], v[106:107], v[96:97]
	v_mul_f64 v[96:97], v[104:105], s[42:43]
	v_add_f64 v[98:99], v[0:1], v[88:89]
	v_mul_f64 v[88:89], v[16:17], s[30:31]
	s_mov_b32 s41, 0xbfe7f3cc
	s_mov_b32 s22, 0x24c2f84
	v_fma_f64 v[108:109], s[28:29], v[132:133], v[96:97]
	v_fma_f64 v[92:93], s[18:19], v[90:91], v[88:89]
	s_mov_b32 s23, 0xbfe5384d
	v_add_f64 v[108:109], v[108:109], v[98:99]
	v_mul_f64 v[98:99], v[104:105], s[40:41]
	s_mov_b32 s37, 0x3fe5384d
	s_mov_b32 s36, s22
	v_add_f64 v[100:101], v[0:1], v[92:93]
	v_mul_f64 v[92:93], v[16:17], s[40:41]
	v_fma_f64 v[110:111], s[36:37], v[132:133], v[98:99]
	v_fma_f64 v[94:95], s[22:23], v[90:91], v[92:93]
	v_add_f64 v[110:111], v[110:111], v[100:101]
	v_mul_f64 v[100:101], v[104:105], s[26:27]
	s_mov_b32 s34, s14
	v_add_f64 v[114:115], v[50:51], v[44:45]
	v_add_f64 v[102:103], v[0:1], v[94:95]
	v_mul_f64 v[94:95], v[16:17], s[42:43]
	v_fma_f64 v[112:113], s[34:35], v[132:133], v[100:101]
	v_add_f64 v[146:147], v[76:77], -v[78:79]
	v_mul_f64 v[76:77], v[114:115], s[26:27]
	v_fma_f64 v[16:17], s[28:29], v[90:91], v[94:95]
	v_add_f64 v[112:113], v[112:113], v[102:103]
	v_mul_f64 v[102:103], v[104:105], s[20:21]
	s_mov_b32 s39, 0x3fddbe06
	s_mov_b32 s38, s12
	v_fma_f64 v[78:79], s[14:15], v[146:147], v[76:77]
	v_add_f64 v[16:17], v[0:1], v[16:17]
	v_fma_f64 v[104:105], s[38:39], v[132:133], v[102:103]
	v_add_f64 v[56:57], v[78:79], v[56:57]
	v_mul_f64 v[78:79], v[114:115], s[42:43]
	v_add_f64 v[16:17], v[104:105], v[16:17]
	v_fma_f64 v[104:105], s[28:29], v[146:147], v[78:79]
	v_add_f64 v[116:117], v[104:105], v[106:107]
	v_mul_f64 v[104:105], v[114:115], s[30:31]
	s_mov_b32 s45, 0x3fedeba7
	s_mov_b32 s44, s18
	v_fma_f64 v[106:107], s[44:45], v[146:147], v[104:105]
	v_add_f64 v[118:119], v[106:107], v[108:109]
	v_mul_f64 v[106:107], v[114:115], s[20:21]
	v_fma_f64 v[108:109], s[38:39], v[146:147], v[106:107]
	v_add_f64 v[120:121], v[108:109], v[110:111]
	v_mul_f64 v[108:109], v[114:115], s[24:25]
	v_add_f64 v[124:125], v[32:33], v[42:43]
	v_fma_f64 v[110:111], s[4:5], v[146:147], v[108:109]
	v_add_f64 v[148:149], v[66:67], -v[68:69]
	v_mul_f64 v[66:67], v[124:125], s[30:31]
	v_add_f64 v[122:123], v[110:111], v[112:113]
	v_mul_f64 v[110:111], v[114:115], s[40:41]
	v_fma_f64 v[68:69], s[18:19], v[148:149], v[66:67]
	v_fma_f64 v[112:113], s[22:23], v[146:147], v[110:111]
	v_add_f64 v[56:57], v[68:69], v[56:57]
	v_mul_f64 v[68:69], v[124:125], s[40:41]
	v_add_f64 v[16:17], v[112:113], v[16:17]
	v_fma_f64 v[112:113], s[36:37], v[148:149], v[68:69]
	v_add_f64 v[126:127], v[112:113], v[116:117]
	v_mul_f64 v[112:113], v[124:125], s[20:21]
	v_fma_f64 v[114:115], s[38:39], v[148:149], v[112:113]
	v_add_f64 v[128:129], v[114:115], v[118:119]
	v_mul_f64 v[114:115], v[124:125], s[26:27]
	;; [unrolled: 3-line block ×3, first 2 shown]
	s_mov_b32 s47, 0x3fcea1e5
	s_mov_b32 s46, s28
	v_fma_f64 v[118:119], s[46:47], v[148:149], v[116:117]
	v_add_f64 v[134:135], v[118:119], v[122:123]
	v_mul_f64 v[118:119], v[124:125], s[24:25]
	s_mov_b32 s49, 0x3fea55e2
	s_mov_b32 s48, s4
	v_fma_f64 v[120:121], s[48:49], v[148:149], v[118:119]
	v_add_f64 v[136:137], v[34:35], v[40:41]
	v_add_f64 v[16:17], v[120:121], v[16:17]
	v_add_f64 v[150:151], v[62:63], -v[64:65]
	v_mul_f64 v[120:121], v[136:137], s[40:41]
	v_fma_f64 v[62:63], s[22:23], v[150:151], v[120:121]
	v_mul_f64 v[122:123], v[136:137], s[26:27]
	v_add_f64 v[56:57], v[62:63], v[56:57]
	v_fma_f64 v[62:63], s[34:35], v[150:151], v[122:123]
	v_mul_f64 v[124:125], v[136:137], s[24:25]
	v_add_f64 v[62:63], v[62:63], v[126:127]
	;; [unrolled: 3-line block ×3, first 2 shown]
	v_fma_f64 v[128:129], s[46:47], v[150:151], v[126:127]
	v_add_f64 v[142:143], v[128:129], v[130:131]
	v_mul_f64 v[128:129], v[136:137], s[20:21]
	v_fma_f64 v[130:131], s[38:39], v[150:151], v[128:129]
	v_add_f64 v[144:145], v[130:131], v[134:135]
	v_mul_f64 v[130:131], v[136:137], s[30:31]
	v_fma_f64 v[134:135], s[18:19], v[150:151], v[130:131]
	v_add_f64 v[164:165], v[36:37], v[38:39]
	v_add_f64 v[16:17], v[134:135], v[16:17]
	v_add_f64 v[152:153], v[58:59], -v[60:61]
	v_mul_f64 v[134:135], v[164:165], s[42:43]
	v_fma_f64 v[58:59], s[28:29], v[152:153], v[134:135]
	v_mul_f64 v[136:137], v[164:165], s[20:21]
	v_add_f64 v[56:57], v[58:59], v[56:57]
	v_fma_f64 v[58:59], s[38:39], v[152:153], v[136:137]
	v_mul_f64 v[140:141], v[164:165], s[24:25]
	v_add_f64 v[58:59], v[58:59], v[62:63]
	v_mul_f64 v[138:139], v[164:165], s[40:41]
	v_fma_f64 v[62:63], s[48:49], v[152:153], v[140:141]
	v_fma_f64 v[60:61], s[22:23], v[152:153], v[138:139]
	v_add_f64 v[62:63], v[62:63], v[142:143]
	v_mul_f64 v[142:143], v[164:165], s[30:31]
	v_add_f64 v[60:61], v[60:61], v[64:65]
	v_fma_f64 v[64:65], s[18:19], v[152:153], v[142:143]
	v_add_f64 v[64:65], v[64:65], v[144:145]
	v_mul_f64 v[144:145], v[164:165], s[26:27]
	v_fma_f64 v[164:165], s[34:35], v[152:153], v[144:145]
	v_add_f64 v[16:17], v[164:165], v[16:17]
	s_waitcnt lgkmcnt(0)
	s_barrier
	s_and_saveexec_b64 s[20:21], s[0:1]
	s_cbranch_execz .LBB0_29
; %bb.28:
	v_add_f64 v[54:55], v[0:1], v[54:55]
	v_add_f64 v[48:49], v[54:55], v[48:49]
	;; [unrolled: 1-line block ×8, first 2 shown]
	v_mul_f64 v[164:165], v[90:91], s[12:13]
	v_mul_f64 v[166:167], v[90:91], s[4:5]
	;; [unrolled: 1-line block ×6, first 2 shown]
	v_add_f64 v[32:33], v[32:33], v[42:43]
	v_mul_f64 v[174:175], v[132:133], s[4:5]
	v_add_f64 v[32:33], v[32:33], v[44:45]
	v_add_f64 v[34:35], v[74:75], -v[164:165]
	v_add_f64 v[36:37], v[84:85], -v[166:167]
	;; [unrolled: 1-line block ×6, first 2 shown]
	v_mul_f64 v[176:177], v[132:133], s[18:19]
	v_add_f64 v[34:35], v[0:1], v[34:35]
	v_add_f64 v[36:37], v[0:1], v[36:37]
	v_add_f64 v[38:39], v[0:1], v[38:39]
	v_add_f64 v[40:41], v[0:1], v[40:41]
	v_add_f64 v[42:43], v[0:1], v[42:43]
	v_add_f64 v[0:1], v[0:1], v[44:45]
	v_add_f64 v[44:45], v[80:81], -v[174:175]
	v_mul_f64 v[178:179], v[132:133], s[28:29]
	v_add_f64 v[34:35], v[44:45], v[34:35]
	v_add_f64 v[44:45], v[82:83], -v[176:177]
	v_mul_f64 v[180:181], v[132:133], s[36:37]
	v_add_f64 v[36:37], v[44:45], v[36:37]
	;; [unrolled: 3-line block ×28, first 2 shown]
	v_add_f64 v[44:45], v[142:143], -v[222:223]
	v_add_f64 v[42:43], v[44:45], v[42:43]
	v_add_f64 v[44:45], v[144:145], -v[152:153]
	v_add_f64 v[0:1], v[44:45], v[0:1]
	v_mul_u32_u24_e32 v44, 26, v163
	v_add_f64 v[32:33], v[32:33], v[46:47]
	v_or_b32_e32 v44, v44, v162
	v_add_f64 v[32:33], v[32:33], v[52:53]
	v_lshl_add_u32 v44, v44, 3, 0
	ds_write2_b64 v44, v[32:33], v[34:35] offset1:2
	ds_write2_b64 v44, v[36:37], v[38:39] offset0:4 offset1:6
	ds_write2_b64 v44, v[40:41], v[42:43] offset0:8 offset1:10
	;; [unrolled: 1-line block ×5, first 2 shown]
	ds_write_b64 v44, v[56:57] offset:192
.LBB0_29:
	s_or_b64 exec, exec, s[20:21]
	s_waitcnt lgkmcnt(0)
	s_barrier
	ds_read_b64 v[0:1], v161
	ds_read_b64 v[66:67], v161 offset:2288
	ds_read_b64 v[54:55], v161 offset:4576
	;; [unrolled: 1-line block ×6, first 2 shown]
                                        ; implicit-def: $vgpr44_vgpr45
	s_and_saveexec_b64 s[0:1], s[2:3]
	s_cbranch_execz .LBB0_31
; %bb.30:
	ds_read_b64 v[64:65], v161 offset:3744
	ds_read_b64 v[62:63], v161 offset:6032
	ds_read_b64 v[60:61], v161 offset:8320
	ds_read_b64 v[58:59], v161 offset:10608
	ds_read_b64 v[56:57], v161 offset:12896
	ds_read_b64 v[16:17], v160
	ds_read_b64 v[44:45], v161 offset:15184
.LBB0_31:
	s_or_b64 exec, exec, s[0:1]
	s_movk_i32 s0, 0x4f
	v_mul_lo_u16_sdwa v32, v155, s0 dst_sel:DWORD dst_unused:UNUSED_PAD src0_sel:BYTE_0 src1_sel:DWORD
	v_lshrrev_b16_e32 v85, 11, v32
	v_mul_lo_u16_e32 v32, 26, v85
	v_sub_u16_e32 v134, v155, v32
	v_mov_b32_e32 v32, 6
	v_mul_u32_u24_sdwa v32, v134, v32 dst_sel:DWORD dst_unused:UNUSED_PAD src0_sel:BYTE_0 src1_sel:DWORD
	v_lshlrev_b32_e32 v32, 4, v32
	s_movk_i32 s0, 0x4ec5
	global_load_dwordx4 v[86:89], v32, s[8:9] offset:400
	global_load_dwordx4 v[90:93], v32, s[8:9] offset:384
	;; [unrolled: 1-line block ×6, first 2 shown]
	v_mul_u32_u24_sdwa v32, v159, s0 dst_sel:DWORD dst_unused:UNUSED_PAD src0_sel:WORD_0 src1_sel:DWORD
	v_lshrrev_b32_e32 v84, 19, v32
	v_mul_lo_u16_e32 v32, 26, v84
	v_sub_u16_e32 v135, v159, v32
	v_mul_u32_u24_e32 v32, 6, v135
	v_lshlrev_b32_e32 v32, 4, v32
	global_load_dwordx4 v[110:113], v32, s[8:9] offset:384
	global_load_dwordx4 v[114:117], v32, s[8:9] offset:400
	;; [unrolled: 1-line block ×6, first 2 shown]
	s_mov_b32 s4, 0x37e14327
	s_mov_b32 s0, 0x36b3c0b5
	;; [unrolled: 1-line block ×20, first 2 shown]
	s_waitcnt lgkmcnt(0)
	s_barrier
	s_waitcnt vmcnt(11)
	v_mul_f64 v[74:75], v[54:55], v[88:89]
	s_waitcnt vmcnt(10)
	v_mul_f64 v[68:69], v[66:67], v[92:93]
	v_mul_f64 v[92:93], v[30:31], v[92:93]
	;; [unrolled: 1-line block ×3, first 2 shown]
	s_waitcnt vmcnt(7)
	v_mul_f64 v[82:83], v[46:47], v[104:105]
	s_waitcnt vmcnt(6)
	v_mul_f64 v[80:81], v[48:49], v[108:109]
	v_mul_f64 v[76:77], v[52:53], v[100:101]
	;; [unrolled: 1-line block ×7, first 2 shown]
	s_waitcnt vmcnt(3)
	v_mul_f64 v[36:37], v[60:61], v[120:121]
	s_waitcnt vmcnt(1)
	v_mul_f64 v[40:41], v[56:57], v[128:129]
	v_fmac_f64_e32 v[68:69], v[30:31], v[90:91]
	v_fmac_f64_e32 v[74:75], v[28:29], v[86:87]
	;; [unrolled: 1-line block ×4, first 2 shown]
	v_mul_f64 v[32:33], v[64:65], v[112:113]
	v_mul_f64 v[34:35], v[62:63], v[116:117]
	;; [unrolled: 1-line block ×5, first 2 shown]
	s_waitcnt vmcnt(0)
	v_mul_f64 v[42:43], v[44:45], v[132:133]
	v_fma_f64 v[66:67], v[66:67], v[90:91], -v[92:93]
	v_fma_f64 v[54:55], v[54:55], v[86:87], -v[88:89]
	v_fmac_f64_e32 v[76:77], v[26:27], v[98:99]
	v_fma_f64 v[52:53], v[52:53], v[98:99], -v[100:101]
	v_fmac_f64_e32 v[78:79], v[24:25], v[94:95]
	v_fma_f64 v[24:25], v[50:51], v[94:95], -v[96:97]
	v_fma_f64 v[48:49], v[48:49], v[106:107], -v[108:109]
	;; [unrolled: 1-line block ×3, first 2 shown]
	v_fmac_f64_e32 v[36:37], v[10:11], v[118:119]
	v_fmac_f64_e32 v[40:41], v[6:7], v[126:127]
	v_add_f64 v[6:7], v[68:69], v[82:83]
	v_add_f64 v[10:11], v[74:75], v[80:81]
	v_mul_f64 v[112:113], v[14:15], v[112:113]
	v_mul_f64 v[116:117], v[12:13], v[116:117]
	;; [unrolled: 1-line block ×4, first 2 shown]
	v_fmac_f64_e32 v[32:33], v[14:15], v[110:111]
	v_fmac_f64_e32 v[34:35], v[12:13], v[114:115]
	;; [unrolled: 1-line block ×4, first 2 shown]
	v_add_f64 v[8:9], v[66:67], -v[18:19]
	v_add_f64 v[12:13], v[54:55], -v[48:49]
	v_add_f64 v[14:15], v[76:77], v[78:79]
	v_add_f64 v[20:21], v[24:25], -v[52:53]
	v_add_f64 v[50:51], v[10:11], v[6:7]
	v_fma_f64 v[28:29], v[60:61], v[118:119], -v[120:121]
	v_fma_f64 v[30:31], v[58:59], v[122:123], -v[124:125]
	;; [unrolled: 1-line block ×3, first 2 shown]
	v_add_f64 v[56:57], v[10:11], -v[6:7]
	v_add_f64 v[6:7], v[6:7], -v[14:15]
	;; [unrolled: 1-line block ×3, first 2 shown]
	v_add_f64 v[58:59], v[20:21], v[12:13]
	v_add_f64 v[60:61], v[20:21], -v[12:13]
	v_add_f64 v[12:13], v[12:13], -v[8:9]
	v_add_f64 v[14:15], v[14:15], v[50:51]
	v_add_f64 v[20:21], v[8:9], -v[20:21]
	v_add_f64 v[8:9], v[58:59], v[8:9]
	v_add_f64 v[4:5], v[4:5], v[14:15]
	v_mul_f64 v[6:7], v[6:7], s[4:5]
	v_mul_f64 v[50:51], v[10:11], s[0:1]
	v_mul_f64 v[58:59], v[60:61], s[14:15]
	v_mul_f64 v[60:61], v[12:13], s[12:13]
	v_fma_f64 v[14:15], s[18:19], v[14:15], v[4:5]
	v_fma_f64 v[50:51], v[56:57], s[20:21], -v[50:51]
	v_fma_f64 v[56:57], v[56:57], s[22:23], -v[6:7]
	v_fmac_f64_e32 v[6:7], s[0:1], v[10:11]
	v_fma_f64 v[10:11], v[12:13], s[12:13], -v[58:59]
	v_fma_f64 v[12:13], v[20:21], s[28:29], -v[60:61]
	v_fmac_f64_e32 v[58:59], s[24:25], v[20:21]
	v_add_f64 v[6:7], v[6:7], v[14:15]
	v_add_f64 v[20:21], v[50:51], v[14:15]
	;; [unrolled: 1-line block ×3, first 2 shown]
	v_fmac_f64_e32 v[12:13], s[26:27], v[8:9]
	v_add_f64 v[50:51], v[12:13], v[14:15]
	v_add_f64 v[12:13], v[14:15], -v[12:13]
	v_mov_b32_e32 v15, 3
	v_fmac_f64_e32 v[58:59], s[26:27], v[8:9]
	v_mul_u32_u24_e32 v14, 0x5b0, v85
	v_lshlrev_b32_sdwa v15, v15, v134 dst_sel:DWORD dst_unused:UNUSED_PAD src0_sel:DWORD src1_sel:BYTE_0
	v_fmac_f64_e32 v[10:11], s[26:27], v[8:9]
	v_add_f64 v[8:9], v[58:59], v[6:7]
	v_add3_u32 v56, 0, v14, v15
	v_fma_f64 v[22:23], v[64:65], v[110:111], -v[112:113]
	v_fma_f64 v[26:27], v[62:63], v[114:115], -v[116:117]
	;; [unrolled: 1-line block ×3, first 2 shown]
	v_add_f64 v[60:61], v[20:21], -v[10:11]
	v_add_f64 v[10:11], v[10:11], v[20:21]
	v_add_f64 v[6:7], v[6:7], -v[58:59]
	ds_write2_b64 v56, v[4:5], v[8:9] offset1:26
	ds_write2_b64 v56, v[50:51], v[60:61] offset0:52 offset1:78
	ds_write2_b64 v56, v[10:11], v[12:13] offset0:104 offset1:130
	ds_write_b64 v56, v[6:7] offset:1248
	v_lshlrev_b32_e32 v51, 3, v135
	s_and_saveexec_b64 s[30:31], s[2:3]
	s_cbranch_execz .LBB0_33
; %bb.32:
	v_add_f64 v[4:5], v[36:37], v[38:39]
	v_add_f64 v[6:7], v[34:35], v[40:41]
	;; [unrolled: 1-line block ×3, first 2 shown]
	v_add_f64 v[14:15], v[12:13], -v[4:5]
	v_add_f64 v[20:21], v[6:7], v[12:13]
	v_add_f64 v[8:9], v[4:5], -v[6:7]
	v_mul_f64 v[14:15], v[14:15], s[4:5]
	v_add_f64 v[4:5], v[4:5], v[20:21]
	v_add_f64 v[20:21], v[30:31], -v[28:29]
	v_add_f64 v[58:59], v[26:27], -v[46:47]
	;; [unrolled: 1-line block ×4, first 2 shown]
	v_mul_f64 v[10:11], v[8:9], s[0:1]
	v_fma_f64 v[8:9], s[0:1], v[8:9], v[14:15]
	v_add_f64 v[64:65], v[20:21], -v[58:59]
	v_fma_f64 v[12:13], v[6:7], s[22:23], -v[14:15]
	v_add_f64 v[14:15], v[58:59], -v[62:63]
	v_add_f64 v[2:3], v[2:3], v[4:5]
	v_add_f64 v[60:61], v[20:21], v[58:59]
	v_mul_f64 v[64:65], v[64:65], s[14:15]
	v_add_f64 v[20:21], v[62:63], -v[20:21]
	v_mul_f64 v[58:59], v[14:15], s[12:13]
	v_fma_f64 v[4:5], s[18:19], v[4:5], v[2:3]
	v_add_f64 v[60:61], v[60:61], v[62:63]
	v_fma_f64 v[86:87], s[24:25], v[20:21], v[64:65]
	v_fma_f64 v[20:21], v[20:21], s[28:29], -v[58:59]
	v_add_f64 v[12:13], v[12:13], v[4:5]
	v_fmac_f64_e32 v[20:21], s[26:27], v[60:61]
	v_add_f64 v[58:59], v[12:13], -v[20:21]
	v_fma_f64 v[6:7], v[6:7], s[20:21], -v[10:11]
	v_add_f64 v[10:11], v[20:21], v[12:13]
	v_mul_lo_u16_e32 v12, 0xb6, v84
	v_add_f64 v[8:9], v[8:9], v[4:5]
	v_fmac_f64_e32 v[86:87], s[26:27], v[60:61]
	v_fma_f64 v[14:15], v[14:15], s[12:13], -v[64:65]
	v_lshlrev_b32_e32 v12, 3, v12
	v_add_f64 v[88:89], v[8:9], -v[86:87]
	v_fmac_f64_e32 v[14:15], s[26:27], v[60:61]
	v_add_f64 v[4:5], v[6:7], v[4:5]
	v_add_f64 v[8:9], v[86:87], v[8:9]
	v_add3_u32 v12, 0, v51, v12
	v_add_f64 v[6:7], v[14:15], v[4:5]
	v_add_f64 v[4:5], v[4:5], -v[14:15]
	ds_write2_b64 v12, v[2:3], v[8:9] offset1:26
	ds_write2_b64 v12, v[10:11], v[4:5] offset0:52 offset1:78
	ds_write2_b64 v12, v[6:7], v[58:59] offset0:104 offset1:130
	ds_write_b64 v12, v[88:89] offset:1248
.LBB0_33:
	s_or_b64 exec, exec, s[30:31]
	v_add_f64 v[2:3], v[66:67], v[18:19]
	v_add_f64 v[6:7], v[54:55], v[48:49]
	v_add_f64 v[8:9], v[74:75], -v[80:81]
	v_add_f64 v[10:11], v[52:53], v[24:25]
	v_add_f64 v[12:13], v[78:79], -v[76:77]
	;; [unrolled: 2-line block ×3, first 2 shown]
	v_add_f64 v[18:19], v[6:7], -v[2:3]
	v_add_f64 v[2:3], v[2:3], -v[10:11]
	;; [unrolled: 1-line block ×4, first 2 shown]
	v_add_f64 v[10:11], v[10:11], v[14:15]
	v_add_f64 v[20:21], v[12:13], v[8:9]
	v_add_f64 v[12:13], v[4:5], -v[12:13]
	v_add_f64 v[8:9], v[8:9], -v[4:5]
	v_add_f64 v[52:53], v[0:1], v[10:11]
	v_mul_f64 v[0:1], v[2:3], s[4:5]
	v_mul_f64 v[2:3], v[6:7], s[0:1]
	;; [unrolled: 1-line block ×3, first 2 shown]
	v_add_f64 v[4:5], v[20:21], v[4:5]
	v_mul_f64 v[20:21], v[8:9], s[12:13]
	v_fma_f64 v[10:11], s[18:19], v[10:11], v[52:53]
	v_fma_f64 v[2:3], v[18:19], s[20:21], -v[2:3]
	v_fma_f64 v[18:19], v[18:19], s[22:23], -v[0:1]
	v_fmac_f64_e32 v[0:1], s[0:1], v[6:7]
	v_fma_f64 v[6:7], v[8:9], s[12:13], -v[14:15]
	v_fmac_f64_e32 v[14:15], s[24:25], v[12:13]
	v_fma_f64 v[8:9], v[12:13], s[28:29], -v[20:21]
	v_add_f64 v[0:1], v[0:1], v[10:11]
	v_fmac_f64_e32 v[14:15], s[26:27], v[4:5]
	v_add_f64 v[2:3], v[2:3], v[10:11]
	v_add_f64 v[10:11], v[18:19], v[10:11]
	v_fmac_f64_e32 v[8:9], s[26:27], v[4:5]
	v_add_f64 v[54:55], v[0:1], -v[14:15]
	v_add_f64 v[66:67], v[14:15], v[0:1]
	v_add_u32_e32 v0, 0x1c00, v161
	v_fmac_f64_e32 v[6:7], s[26:27], v[4:5]
	v_add_f64 v[58:59], v[10:11], -v[8:9]
	v_add_f64 v[64:65], v[8:9], v[10:11]
	s_waitcnt lgkmcnt(0)
	s_barrier
	ds_read_b64 v[12:13], v160
	v_lshl_add_u32 v48, v156, 3, 0
	v_lshl_add_u32 v49, v157, 3, 0
	v_lshl_add_u32 v50, v158, 3, 0
	ds_read_b64 v[24:25], v161
	ds_read_b64 v[14:15], v48
	;; [unrolled: 1-line block ×4, first 2 shown]
	ds_read2_b64 v[8:11], v0 offset0:14 offset1:196
	v_add_u32_e32 v0, 0x2600, v161
	v_add_f64 v[60:61], v[6:7], v[2:3]
	v_add_f64 v[62:63], v[2:3], -v[6:7]
	ds_read2_b64 v[4:7], v0 offset0:58 offset1:240
	v_add_u32_e32 v0, 0x3200, v161
	ds_read2_b64 v[0:3], v0 offset0:38 offset1:220
	s_waitcnt lgkmcnt(0)
	s_barrier
	ds_write2_b64 v56, v[52:53], v[54:55] offset1:26
	ds_write2_b64 v56, v[58:59], v[60:61] offset0:52 offset1:78
	ds_write2_b64 v56, v[62:63], v[64:65] offset0:104 offset1:130
	ds_write_b64 v56, v[66:67] offset:1248
	s_and_saveexec_b64 s[0:1], s[2:3]
	s_cbranch_execz .LBB0_35
; %bb.34:
	v_add_f64 v[22:23], v[22:23], v[44:45]
	v_add_f64 v[26:27], v[26:27], v[46:47]
	;; [unrolled: 1-line block ×3, first 2 shown]
	s_mov_b32 s2, 0x37e14327
	v_add_f64 v[30:31], v[38:39], -v[36:37]
	v_add_f64 v[36:37], v[26:27], v[22:23]
	v_add_f64 v[38:39], v[26:27], -v[22:23]
	v_add_f64 v[22:23], v[22:23], -v[28:29]
	s_mov_b32 s3, 0x3fe948f6
	v_add_f64 v[26:27], v[28:29], -v[26:27]
	v_add_f64 v[28:29], v[28:29], v[36:37]
	v_mul_f64 v[22:23], v[22:23], s[2:3]
	s_mov_b32 s2, 0x36b3c0b5
	s_mov_b32 s12, 0xaaaaaaaa
	v_add_f64 v[34:35], v[34:35], -v[40:41]
	v_add_f64 v[16:17], v[16:17], v[28:29]
	s_mov_b32 s3, 0x3fac98ee
	s_mov_b32 s4, 0xe976ee23
	s_mov_b32 s13, 0xbff2aaaa
	v_add_f64 v[32:33], v[32:33], -v[42:43]
	v_add_f64 v[40:41], v[30:31], v[34:35]
	v_add_f64 v[42:43], v[30:31], -v[34:35]
	v_mul_f64 v[36:37], v[26:27], s[2:3]
	s_mov_b32 s5, 0x3fe11646
	v_fma_f64 v[28:29], s[12:13], v[28:29], v[16:17]
	s_mov_b32 s13, 0x3fe77f67
	s_mov_b32 s12, 0x5476071b
	v_add_f64 v[30:31], v[32:33], -v[30:31]
	v_add_f64 v[34:35], v[34:35], -v[32:33]
	v_add_f64 v[32:33], v[40:41], v[32:33]
	v_mul_f64 v[40:41], v[42:43], s[4:5]
	s_mov_b32 s4, 0x429ad128
	v_fma_f64 v[36:37], v[38:39], s[12:13], -v[36:37]
	s_mov_b32 s13, 0xbfe77f67
	s_mov_b32 s5, 0xbfebfeb5
	v_fma_f64 v[38:39], v[38:39], s[12:13], -v[22:23]
	v_fmac_f64_e32 v[22:23], s[2:3], v[26:27]
	s_mov_b32 s3, 0xbfd5d0dc
	s_mov_b32 s2, 0xb247c609
	v_mul_f64 v[42:43], v[34:35], s[4:5]
	v_fma_f64 v[26:27], v[34:35], s[4:5], -v[40:41]
	v_fmac_f64_e32 v[40:41], s[2:3], v[30:31]
	s_mov_b32 s3, 0x3fd5d0dc
	v_fma_f64 v[30:31], v[30:31], s[2:3], -v[42:43]
	s_mov_b32 s2, 0x37c3f68c
	s_mov_b32 s3, 0xbfdc38aa
	v_add_f64 v[22:23], v[22:23], v[28:29]
	v_add_f64 v[34:35], v[36:37], v[28:29]
	;; [unrolled: 1-line block ×3, first 2 shown]
	v_fmac_f64_e32 v[30:31], s[2:3], v[32:33]
	v_add_f64 v[36:37], v[28:29], -v[30:31]
	v_add_f64 v[28:29], v[30:31], v[28:29]
	v_mul_lo_u16_e32 v30, 0xb6, v84
	v_fmac_f64_e32 v[40:41], s[2:3], v[32:33]
	v_lshlrev_b32_e32 v30, 3, v30
	v_fmac_f64_e32 v[26:27], s[2:3], v[32:33]
	v_add_f64 v[32:33], v[22:23], -v[40:41]
	v_add3_u32 v30, 0, v51, v30
	v_add_f64 v[38:39], v[26:27], v[34:35]
	v_add_f64 v[26:27], v[34:35], -v[26:27]
	v_add_f64 v[22:23], v[40:41], v[22:23]
	ds_write2_b64 v30, v[16:17], v[32:33] offset1:26
	ds_write2_b64 v30, v[36:37], v[38:39] offset0:52 offset1:78
	ds_write2_b64 v30, v[26:27], v[28:29] offset0:104 offset1:130
	ds_write_b64 v30, v[22:23] offset:1248
.LBB0_35:
	s_or_b64 exec, exec, s[0:1]
	s_waitcnt lgkmcnt(0)
	s_barrier
	s_and_saveexec_b64 s[0:1], vcc
	s_cbranch_execz .LBB0_37
; %bb.36:
	v_mul_u32_u24_e32 v16, 10, v155
	v_lshlrev_b32_e32 v16, 4, v16
	global_load_dwordx4 v[52:55], v16, s[8:9] offset:2944
	global_load_dwordx4 v[56:59], v16, s[8:9] offset:2960
	;; [unrolled: 1-line block ×10, first 2 shown]
	v_add_u32_e32 v30, 0x1c00, v161
	v_add_u32_e32 v31, 0x2600, v161
	;; [unrolled: 1-line block ×3, first 2 shown]
	ds_read_b64 v[16:17], v50
	ds_read_b64 v[22:23], v49
	;; [unrolled: 1-line block ×4, first 2 shown]
	ds_read2_b64 v[46:49], v30 offset0:14 offset1:196
	ds_read2_b64 v[98:101], v31 offset0:58 offset1:240
	;; [unrolled: 1-line block ×3, first 2 shown]
	v_mul_lo_u32 v28, s11, v72
	v_mul_lo_u32 v29, s10, v73
	v_mad_u64_u32 v[26:27], s[0:1], s10, v72, 0
	v_add3_u32 v27, v27, v29, v28
	s_mov_b32 s22, 0xfd768dbf
	s_mov_b32 s18, 0xf8bb580b
	;; [unrolled: 1-line block ×26, first 2 shown]
	v_lshl_add_u64 v[26:27], v[26:27], 4, s[6:7]
	v_lshl_add_u64 v[26:27], v[70:71], 4, v[26:27]
	s_waitcnt vmcnt(9)
	v_mul_f64 v[28:29], v[8:9], v[52:53]
	s_waitcnt vmcnt(8)
	v_mul_f64 v[30:31], v[10:11], v[56:57]
	v_mul_f64 v[10:11], v[10:11], v[58:59]
	s_waitcnt lgkmcnt(2)
	v_fmac_f64_e32 v[30:31], v[48:49], v[58:59]
	s_waitcnt vmcnt(5)
	v_mul_f64 v[40:41], v[18:19], v[74:75]
	v_mul_f64 v[18:19], v[18:19], v[76:77]
	v_fma_f64 v[58:59], v[22:23], v[74:75], -v[18:19]
	ds_read_b64 v[18:19], v160
	v_mul_f64 v[34:35], v[20:21], v[60:61]
	v_mul_f64 v[32:33], v[4:5], v[64:65]
	v_mul_f64 v[4:5], v[4:5], v[66:67]
	v_mul_f64 v[20:21], v[20:21], v[62:63]
	v_fmac_f64_e32 v[34:35], v[16:17], v[62:63]
	s_waitcnt lgkmcnt(2)
	v_fma_f64 v[50:51], v[98:99], v[64:65], -v[4:5]
	s_waitcnt vmcnt(0)
	v_mul_f64 v[64:65], v[12:13], v[94:95]
	v_mul_f64 v[62:63], v[2:3], v[90:91]
	;; [unrolled: 1-line block ×6, first 2 shown]
	s_waitcnt lgkmcnt(0)
	v_fmac_f64_e32 v[64:65], v[18:19], v[96:97]
	v_fmac_f64_e32 v[62:63], v[104:105], v[92:93]
	v_mul_f64 v[12:13], v[12:13], v[96:97]
	v_mul_f64 v[2:3], v[2:3], v[92:93]
	v_mul_f64 v[8:9], v[8:9], v[54:55]
	v_mul_f64 v[14:15], v[14:15], v[84:85]
	v_mul_f64 v[0:1], v[0:1], v[88:89]
	v_fmac_f64_e32 v[28:29], v[46:47], v[54:55]
	v_fmac_f64_e32 v[32:33], v[98:99], v[66:67]
	;; [unrolled: 1-line block ×4, first 2 shown]
	v_fma_f64 v[54:55], v[100:101], v[78:79], -v[6:7]
	v_fmac_f64_e32 v[44:45], v[68:69], v[84:85]
	v_fmac_f64_e32 v[38:39], v[102:103], v[88:89]
	v_add_f64 v[100:101], v[64:65], -v[62:63]
	v_fma_f64 v[76:77], v[18:19], v[94:95], -v[12:13]
	v_fma_f64 v[66:67], v[104:105], v[90:91], -v[2:3]
	;; [unrolled: 1-line block ×7, first 2 shown]
	v_add_f64 v[88:89], v[44:45], -v[38:39]
	v_mul_f64 v[22:23], v[100:101], s[22:23]
	v_add_f64 v[80:81], v[76:77], v[66:67]
	v_add_f64 v[86:87], v[40:41], -v[36:37]
	v_mul_f64 v[10:11], v[88:89], s[18:19]
	v_add_f64 v[78:79], v[60:61], v[56:57]
	v_fma_f64 v[2:3], s[20:21], v[80:81], v[22:23]
	v_add_f64 v[110:111], v[76:77], -v[66:67]
	v_add_f64 v[84:85], v[34:35], -v[32:33]
	v_add_f64 v[74:75], v[58:59], v[54:55]
	v_mul_f64 v[8:9], v[86:87], s[12:13]
	v_fma_f64 v[20:21], s[14:15], v[78:79], v[10:11]
	v_add_f64 v[2:3], v[42:43], v[2:3]
	v_add_f64 v[108:109], v[60:61], -v[56:57]
	v_add_f64 v[98:99], v[64:65], v[62:63]
	v_mul_f64 v[116:117], v[110:111], s[22:23]
	v_add_f64 v[72:73], v[52:53], v[50:51]
	v_mul_f64 v[6:7], v[84:85], s[10:11]
	v_fma_f64 v[16:17], s[4:5], v[74:75], v[8:9]
	v_add_f64 v[2:3], v[20:21], v[2:3]
	v_add_f64 v[106:107], v[58:59], -v[54:55]
	v_add_f64 v[96:97], v[44:45], v[38:39]
	v_mul_f64 v[112:113], v[108:109], s[18:19]
	v_fma_f64 v[118:119], v[98:99], s[20:21], -v[116:117]
	v_add_f64 v[82:83], v[28:29], -v[30:31]
	v_fma_f64 v[14:15], s[2:3], v[72:73], v[6:7]
	v_add_f64 v[2:3], v[16:17], v[2:3]
	v_add_f64 v[104:105], v[52:53], -v[50:51]
	v_add_f64 v[94:95], v[40:41], v[36:37]
	v_mul_f64 v[18:19], v[106:107], s[12:13]
	v_fma_f64 v[114:115], v[96:97], s[14:15], -v[112:113]
	v_add_f64 v[118:119], v[24:25], v[118:119]
	v_add_f64 v[68:69], v[46:47], v[48:49]
	v_mul_f64 v[4:5], v[82:83], s[8:9]
	v_add_f64 v[2:3], v[14:15], v[2:3]
	v_add_f64 v[102:103], v[46:47], -v[48:49]
	v_add_f64 v[92:93], v[34:35], v[32:33]
	v_mul_f64 v[14:15], v[104:105], s[10:11]
	v_fma_f64 v[20:21], v[94:95], s[4:5], -v[18:19]
	v_add_f64 v[114:115], v[114:115], v[118:119]
	v_fma_f64 v[0:1], s[0:1], v[68:69], v[4:5]
	v_add_f64 v[90:91], v[28:29], v[30:31]
	v_mul_f64 v[12:13], v[102:103], s[8:9]
	v_fma_f64 v[16:17], v[92:93], s[2:3], -v[14:15]
	v_add_f64 v[20:21], v[20:21], v[114:115]
	v_add_f64 v[2:3], v[0:1], v[2:3]
	v_fma_f64 v[0:1], v[90:91], s[0:1], -v[12:13]
	v_add_f64 v[16:17], v[16:17], v[20:21]
	v_add_f64 v[0:1], v[0:1], v[16:17]
	v_fma_f64 v[16:17], v[80:81], s[20:21], -v[22:23]
	v_fma_f64 v[10:11], v[78:79], s[14:15], -v[10:11]
	v_add_f64 v[16:17], v[42:43], v[16:17]
	v_fma_f64 v[8:9], v[74:75], s[4:5], -v[8:9]
	v_add_f64 v[10:11], v[10:11], v[16:17]
	;; [unrolled: 2-line block ×4, first 2 shown]
	v_fmac_f64_e32 v[116:117], s[20:21], v[98:99]
	v_add_f64 v[6:7], v[4:5], v[6:7]
	v_fmac_f64_e32 v[112:113], s[14:15], v[96:97]
	v_add_f64 v[4:5], v[24:25], v[116:117]
	v_add_f64 v[4:5], v[112:113], v[4:5]
	v_mul_f64 v[112:113], v[100:101], s[12:13]
	v_fmac_f64_e32 v[18:19], s[4:5], v[94:95]
	v_mul_f64 v[20:21], v[88:89], s[26:27]
	v_fma_f64 v[114:115], s[4:5], v[80:81], v[112:113]
	v_mul_f64 v[124:125], v[110:111], s[12:13]
	v_fmac_f64_e32 v[14:15], s[2:3], v[92:93]
	v_add_f64 v[4:5], v[18:19], v[4:5]
	v_mul_f64 v[16:17], v[86:87], s[24:25]
	v_fma_f64 v[22:23], s[0:1], v[78:79], v[20:21]
	v_add_f64 v[114:115], v[42:43], v[114:115]
	v_mul_f64 v[120:121], v[108:109], s[26:27]
	v_fma_f64 v[126:127], v[98:99], s[4:5], -v[124:125]
	v_fmac_f64_e32 v[12:13], s[0:1], v[90:91]
	v_add_f64 v[4:5], v[14:15], v[4:5]
	v_mul_f64 v[14:15], v[84:85], s[22:23]
	v_fma_f64 v[18:19], s[14:15], v[74:75], v[16:17]
	v_add_f64 v[22:23], v[22:23], v[114:115]
	v_mul_f64 v[116:117], v[106:107], s[24:25]
	v_fma_f64 v[122:123], v[96:97], s[0:1], -v[120:121]
	v_add_f64 v[126:127], v[24:25], v[126:127]
	v_add_f64 v[4:5], v[12:13], v[4:5]
	v_mul_f64 v[12:13], v[82:83], s[10:11]
	v_fma_f64 v[10:11], s[20:21], v[72:73], v[14:15]
	v_add_f64 v[18:19], v[18:19], v[22:23]
	v_mul_f64 v[114:115], v[104:105], s[22:23]
	v_fma_f64 v[118:119], v[94:95], s[14:15], -v[116:117]
	v_add_f64 v[122:123], v[122:123], v[126:127]
	v_fma_f64 v[8:9], s[2:3], v[68:69], v[12:13]
	v_add_f64 v[10:11], v[10:11], v[18:19]
	v_mul_f64 v[22:23], v[102:103], s[10:11]
	v_fma_f64 v[18:19], v[92:93], s[20:21], -v[114:115]
	v_add_f64 v[118:119], v[118:119], v[122:123]
	v_add_f64 v[10:11], v[8:9], v[10:11]
	v_fma_f64 v[8:9], v[90:91], s[2:3], -v[22:23]
	v_add_f64 v[18:19], v[18:19], v[118:119]
	v_add_f64 v[8:9], v[8:9], v[18:19]
	v_fma_f64 v[18:19], v[78:79], s[0:1], -v[20:21]
	v_fma_f64 v[20:21], v[80:81], s[4:5], -v[112:113]
	v_add_f64 v[20:21], v[42:43], v[20:21]
	v_fma_f64 v[16:17], v[74:75], s[14:15], -v[16:17]
	v_add_f64 v[18:19], v[18:19], v[20:21]
	;; [unrolled: 2-line block ×4, first 2 shown]
	v_fmac_f64_e32 v[124:125], s[4:5], v[98:99]
	v_add_f64 v[18:19], v[12:13], v[14:15]
	v_fmac_f64_e32 v[120:121], s[0:1], v[96:97]
	v_add_f64 v[12:13], v[24:25], v[124:125]
	;; [unrolled: 2-line block ×3, first 2 shown]
	v_mul_f64 v[120:121], v[100:101], s[8:9]
	v_fmac_f64_e32 v[114:115], s[20:21], v[92:93]
	v_add_f64 v[12:13], v[116:117], v[12:13]
	v_mul_f64 v[116:117], v[88:89], s[28:29]
	v_fma_f64 v[122:123], s[0:1], v[80:81], v[120:121]
	v_mul_f64 v[132:133], v[110:111], s[8:9]
	v_fmac_f64_e32 v[22:23], s[2:3], v[90:91]
	v_add_f64 v[12:13], v[114:115], v[12:13]
	v_mul_f64 v[112:113], v[86:87], s[10:11]
	v_fma_f64 v[118:119], s[20:21], v[78:79], v[116:117]
	v_add_f64 v[122:123], v[42:43], v[122:123]
	v_mul_f64 v[128:129], v[108:109], s[28:29]
	v_fma_f64 v[134:135], v[98:99], s[0:1], -v[132:133]
	v_add_f64 v[16:17], v[22:23], v[12:13]
	v_mul_f64 v[22:23], v[84:85], s[24:25]
	v_fma_f64 v[114:115], s[2:3], v[74:75], v[112:113]
	v_add_f64 v[118:119], v[118:119], v[122:123]
	v_mul_f64 v[124:125], v[106:107], s[10:11]
	v_fma_f64 v[130:131], v[96:97], s[20:21], -v[128:129]
	;; [unrolled: 6-line block ×3, first 2 shown]
	v_add_f64 v[130:131], v[130:131], v[134:135]
	v_fma_f64 v[12:13], s[4:5], v[68:69], v[20:21]
	v_add_f64 v[14:15], v[14:15], v[114:115]
	v_mul_f64 v[118:119], v[102:103], s[12:13]
	v_fma_f64 v[114:115], v[92:93], s[14:15], -v[122:123]
	v_add_f64 v[126:127], v[126:127], v[130:131]
	v_add_f64 v[14:15], v[12:13], v[14:15]
	v_fma_f64 v[12:13], v[90:91], s[4:5], -v[118:119]
	v_add_f64 v[114:115], v[114:115], v[126:127]
	v_add_f64 v[12:13], v[12:13], v[114:115]
	v_fma_f64 v[114:115], v[78:79], s[20:21], -v[116:117]
	v_fma_f64 v[116:117], v[80:81], s[0:1], -v[120:121]
	v_add_f64 v[116:117], v[42:43], v[116:117]
	v_fma_f64 v[112:113], v[74:75], s[2:3], -v[112:113]
	v_add_f64 v[114:115], v[114:115], v[116:117]
	v_fma_f64 v[22:23], v[72:73], s[14:15], -v[22:23]
	v_add_f64 v[112:113], v[112:113], v[114:115]
	v_fma_f64 v[20:21], v[68:69], s[4:5], -v[20:21]
	v_add_f64 v[22:23], v[22:23], v[112:113]
	v_fmac_f64_e32 v[132:133], s[0:1], v[98:99]
	v_add_f64 v[114:115], v[20:21], v[22:23]
	v_fmac_f64_e32 v[128:129], s[20:21], v[96:97]
	v_add_f64 v[20:21], v[24:25], v[132:133]
	s_mov_b32 s11, 0xbfed1bb4
	v_fmac_f64_e32 v[124:125], s[2:3], v[94:95]
	v_add_f64 v[20:21], v[128:129], v[20:21]
	v_mul_f64 v[128:129], v[100:101], s[10:11]
	v_fmac_f64_e32 v[122:123], s[14:15], v[92:93]
	v_add_f64 v[20:21], v[124:125], v[20:21]
	v_mul_f64 v[124:125], v[88:89], s[12:13]
	v_fma_f64 v[130:131], s[2:3], v[80:81], v[128:129]
	v_fma_f64 v[128:129], v[80:81], s[2:3], -v[128:129]
	v_fmac_f64_e32 v[118:119], s[4:5], v[90:91]
	v_add_f64 v[20:21], v[122:123], v[20:21]
	v_mul_f64 v[120:121], v[86:87], s[28:29]
	v_fma_f64 v[126:127], s[4:5], v[78:79], v[124:125]
	v_fma_f64 v[124:125], v[78:79], s[4:5], -v[124:125]
	v_add_f64 v[128:129], v[42:43], v[128:129]
	v_add_f64 v[112:113], v[118:119], v[20:21]
	v_mul_f64 v[118:119], v[84:85], s[26:27]
	v_fma_f64 v[122:123], s[20:21], v[74:75], v[120:121]
	v_fma_f64 v[120:121], v[74:75], s[20:21], -v[120:121]
	v_add_f64 v[124:125], v[124:125], v[128:129]
	v_mul_f64 v[116:117], v[82:83], s[18:19]
	v_fma_f64 v[22:23], s[0:1], v[72:73], v[118:119]
	v_mul_f64 v[140:141], v[110:111], s[10:11]
	v_fma_f64 v[118:119], v[72:73], s[0:1], -v[118:119]
	v_add_f64 v[120:121], v[120:121], v[124:125]
	v_fma_f64 v[20:21], s[14:15], v[68:69], v[116:117]
	v_add_f64 v[130:131], v[42:43], v[130:131]
	v_mul_f64 v[136:137], v[108:109], s[12:13]
	v_fma_f64 v[142:143], v[98:99], s[2:3], -v[140:141]
	v_fma_f64 v[116:117], v[68:69], s[14:15], -v[116:117]
	v_add_f64 v[118:119], v[118:119], v[120:121]
	v_fmac_f64_e32 v[140:141], s[2:3], v[98:99]
	v_add_f64 v[126:127], v[126:127], v[130:131]
	v_mul_f64 v[132:133], v[106:107], s[28:29]
	v_fma_f64 v[138:139], v[96:97], s[4:5], -v[136:137]
	v_add_f64 v[118:119], v[116:117], v[118:119]
	v_fmac_f64_e32 v[136:137], s[4:5], v[96:97]
	v_add_f64 v[116:117], v[24:25], v[140:141]
	v_add_f64 v[122:123], v[122:123], v[126:127]
	v_mul_f64 v[126:127], v[104:105], s[26:27]
	v_fma_f64 v[134:135], v[94:95], s[20:21], -v[132:133]
	v_fmac_f64_e32 v[132:133], s[20:21], v[94:95]
	v_add_f64 v[116:117], v[136:137], v[116:117]
	v_mul_f64 v[100:101], v[100:101], s[24:25]
	v_add_f64 v[22:23], v[22:23], v[122:123]
	v_mul_f64 v[122:123], v[102:103], s[18:19]
	v_fma_f64 v[130:131], v[92:93], s[0:1], -v[126:127]
	v_add_f64 v[142:143], v[24:25], v[142:143]
	v_fmac_f64_e32 v[126:127], s[0:1], v[92:93]
	v_add_f64 v[116:117], v[132:133], v[116:117]
	v_mul_f64 v[88:89], v[88:89], s[10:11]
	v_fma_f64 v[128:129], s[14:15], v[80:81], v[100:101]
	v_fma_f64 v[80:81], v[80:81], s[14:15], -v[100:101]
	v_add_f64 v[22:23], v[20:21], v[22:23]
	v_fma_f64 v[20:21], v[90:91], s[14:15], -v[122:123]
	v_add_f64 v[138:139], v[138:139], v[142:143]
	v_fmac_f64_e32 v[122:123], s[14:15], v[90:91]
	v_add_f64 v[116:117], v[126:127], v[116:117]
	v_mul_f64 v[86:87], v[86:87], s[8:9]
	v_fma_f64 v[126:127], s[2:3], v[78:79], v[88:89]
	v_fma_f64 v[78:79], v[78:79], s[2:3], -v[88:89]
	v_add_f64 v[80:81], v[42:43], v[80:81]
	v_add_f64 v[134:135], v[134:135], v[138:139]
	;; [unrolled: 1-line block ×3, first 2 shown]
	v_mul_f64 v[122:123], v[84:85], s[12:13]
	v_fma_f64 v[124:125], s[0:1], v[74:75], v[86:87]
	v_fma_f64 v[74:75], v[74:75], s[0:1], -v[86:87]
	v_add_f64 v[78:79], v[78:79], v[80:81]
	v_add_f64 v[130:131], v[130:131], v[134:135]
	v_mul_f64 v[120:121], v[82:83], s[22:23]
	v_fma_f64 v[84:85], s[4:5], v[72:73], v[122:123]
	v_mul_f64 v[110:111], v[110:111], s[24:25]
	v_fma_f64 v[72:73], v[72:73], s[4:5], -v[122:123]
	v_add_f64 v[74:75], v[74:75], v[78:79]
	v_add_f64 v[20:21], v[20:21], v[130:131]
	v_fma_f64 v[82:83], s[20:21], v[68:69], v[120:121]
	v_fma_f64 v[130:131], v[98:99], s[14:15], -v[110:111]
	v_fma_f64 v[68:69], v[68:69], s[20:21], -v[120:121]
	v_add_f64 v[72:73], v[72:73], v[74:75]
	v_fmac_f64_e32 v[110:111], s[14:15], v[98:99]
	v_add_f64 v[130:131], v[24:25], v[130:131]
	v_add_f64 v[74:75], v[68:69], v[72:73]
	;; [unrolled: 1-line block ×17, first 2 shown]
	v_mul_f64 v[106:107], v[106:107], s[8:9]
	v_add_f64 v[42:43], v[46:47], v[42:43]
	v_add_f64 v[24:25], v[38:39], v[24:25]
	;; [unrolled: 1-line block ×3, first 2 shown]
	v_fma_f64 v[126:127], v[94:95], s[0:1], -v[106:107]
	v_fmac_f64_e32 v[106:107], s[0:1], v[94:95]
	v_add_f64 v[42:43], v[48:49], v[42:43]
	v_add_f64 v[40:41], v[62:63], v[24:25]
	v_mad_u64_u32 v[24:25], s[0:1], s16, v154, 0
	v_add_f64 v[42:43], v[50:51], v[42:43]
	v_mov_b32_e32 v28, v25
	v_add_f64 v[42:43], v[54:55], v[42:43]
	v_mad_u64_u32 v[28:29], s[0:1], s17, v154, v[28:29]
	v_add_f64 v[42:43], v[56:57], v[42:43]
	v_mov_b32_e32 v25, v28
	v_mul_f64 v[108:109], v[108:109], s[10:11]
	v_add_f64 v[42:43], v[66:67], v[42:43]
	v_lshl_add_u64 v[24:25], v[24:25], 4, v[26:27]
	v_add_u32_e32 v29, 0xb6, v154
	v_fma_f64 v[128:129], v[96:97], s[2:3], -v[108:109]
	v_fmac_f64_e32 v[108:109], s[2:3], v[96:97]
	global_store_dwordx4 v[24:25], v[40:43], off
	v_mad_u64_u32 v[24:25], s[0:1], s16, v29, 0
	v_mul_f64 v[104:105], v[104:105], s[12:13]
	v_add_f64 v[68:69], v[108:109], v[68:69]
	v_mov_b32_e32 v28, v25
	v_add_f64 v[84:85], v[84:85], v[124:125]
	v_mul_f64 v[102:103], v[102:103], s[22:23]
	v_fma_f64 v[124:125], v[92:93], s[4:5], -v[104:105]
	v_fmac_f64_e32 v[104:105], s[4:5], v[92:93]
	v_add_f64 v[68:69], v[106:107], v[68:69]
	v_mad_u64_u32 v[28:29], s[0:1], s17, v29, v[28:29]
	v_add_f64 v[84:85], v[82:83], v[84:85]
	v_fma_f64 v[82:83], v[90:91], s[20:21], -v[102:103]
	v_fmac_f64_e32 v[102:103], s[20:21], v[90:91]
	v_add_f64 v[68:69], v[104:105], v[68:69]
	v_mov_b32_e32 v25, v28
	v_add_f64 v[72:73], v[102:103], v[68:69]
	v_lshl_add_u64 v[24:25], v[24:25], 4, v[26:27]
	v_add_u32_e32 v29, 0x16c, v154
	global_store_dwordx4 v[24:25], v[72:75], off
	v_mad_u64_u32 v[24:25], s[0:1], s16, v29, 0
	v_mov_b32_e32 v28, v25
	v_mad_u64_u32 v[28:29], s[0:1], s17, v29, v[28:29]
	v_mov_b32_e32 v25, v28
	v_lshl_add_u64 v[24:25], v[24:25], 4, v[26:27]
	v_add_u32_e32 v29, 0x222, v154
	global_store_dwordx4 v[24:25], v[116:119], off
	v_mad_u64_u32 v[24:25], s[0:1], s16, v29, 0
	v_mov_b32_e32 v28, v25
	v_mad_u64_u32 v[28:29], s[0:1], s17, v29, v[28:29]
	v_mov_b32_e32 v25, v28
	;; [unrolled: 7-line block ×3, first 2 shown]
	v_lshl_add_u64 v[24:25], v[24:25], 4, v[26:27]
	global_store_dwordx4 v[24:25], v[16:19], off
	v_add_f64 v[128:129], v[128:129], v[130:131]
	v_add_f64 v[126:127], v[126:127], v[128:129]
	v_add_u32_e32 v19, 0x38e, v154
	v_mad_u64_u32 v[16:17], s[0:1], s16, v19, 0
	v_mov_b32_e32 v18, v17
	v_mad_u64_u32 v[18:19], s[0:1], s17, v19, v[18:19]
	v_mov_b32_e32 v17, v18
	v_lshl_add_u64 v[16:17], v[16:17], 4, v[26:27]
	global_store_dwordx4 v[16:17], v[4:7], off
	v_add_f64 v[124:125], v[124:125], v[126:127]
	v_add_f64 v[82:83], v[82:83], v[124:125]
	v_add_u32_e32 v7, 0x444, v154
	v_mad_u64_u32 v[4:5], s[0:1], s16, v7, 0
	v_mov_b32_e32 v6, v5
	v_mad_u64_u32 v[6:7], s[0:1], s17, v7, v[6:7]
	v_mov_b32_e32 v5, v6
	v_lshl_add_u64 v[4:5], v[4:5], 4, v[26:27]
	global_store_dwordx4 v[4:5], v[0:3], off
	s_nop 1
	v_add_u32_e32 v3, 0x4fa, v154
	v_mad_u64_u32 v[0:1], s[0:1], s16, v3, 0
	v_mov_b32_e32 v2, v1
	v_mad_u64_u32 v[2:3], s[0:1], s17, v3, v[2:3]
	v_mov_b32_e32 v1, v2
	v_lshl_add_u64 v[0:1], v[0:1], 4, v[26:27]
	v_add_u32_e32 v3, 0x5b0, v154
	global_store_dwordx4 v[0:1], v[8:11], off
	v_mad_u64_u32 v[0:1], s[0:1], s16, v3, 0
	v_mov_b32_e32 v2, v1
	v_mad_u64_u32 v[2:3], s[0:1], s17, v3, v[2:3]
	v_mov_b32_e32 v1, v2
	v_lshl_add_u64 v[0:1], v[0:1], 4, v[26:27]
	v_add_u32_e32 v3, 0x666, v154
	global_store_dwordx4 v[0:1], v[12:15], off
	;; [unrolled: 7-line block ×3, first 2 shown]
	v_mad_u64_u32 v[0:1], s[0:1], s16, v3, 0
	v_mov_b32_e32 v2, v1
	v_mad_u64_u32 v[2:3], s[0:1], s17, v3, v[2:3]
	v_mov_b32_e32 v1, v2
	v_lshl_add_u64 v[0:1], v[0:1], 4, v[26:27]
	global_store_dwordx4 v[0:1], v[82:85], off
.LBB0_37:
	s_endpgm
	.section	.rodata,"a",@progbits
	.p2align	6, 0x0
	.amdhsa_kernel fft_rtc_back_len2002_factors_2_13_7_11_wgs_182_tpt_182_halfLds_dp_op_CI_CI_sbrr_dirReg
		.amdhsa_group_segment_fixed_size 0
		.amdhsa_private_segment_fixed_size 0
		.amdhsa_kernarg_size 104
		.amdhsa_user_sgpr_count 2
		.amdhsa_user_sgpr_dispatch_ptr 0
		.amdhsa_user_sgpr_queue_ptr 0
		.amdhsa_user_sgpr_kernarg_segment_ptr 1
		.amdhsa_user_sgpr_dispatch_id 0
		.amdhsa_user_sgpr_kernarg_preload_length 0
		.amdhsa_user_sgpr_kernarg_preload_offset 0
		.amdhsa_user_sgpr_private_segment_size 0
		.amdhsa_uses_dynamic_stack 0
		.amdhsa_enable_private_segment 0
		.amdhsa_system_sgpr_workgroup_id_x 1
		.amdhsa_system_sgpr_workgroup_id_y 0
		.amdhsa_system_sgpr_workgroup_id_z 0
		.amdhsa_system_sgpr_workgroup_info 0
		.amdhsa_system_vgpr_workitem_id 0
		.amdhsa_next_free_vgpr 224
		.amdhsa_next_free_sgpr 50
		.amdhsa_accum_offset 224
		.amdhsa_reserve_vcc 1
		.amdhsa_float_round_mode_32 0
		.amdhsa_float_round_mode_16_64 0
		.amdhsa_float_denorm_mode_32 3
		.amdhsa_float_denorm_mode_16_64 3
		.amdhsa_dx10_clamp 1
		.amdhsa_ieee_mode 1
		.amdhsa_fp16_overflow 0
		.amdhsa_tg_split 0
		.amdhsa_exception_fp_ieee_invalid_op 0
		.amdhsa_exception_fp_denorm_src 0
		.amdhsa_exception_fp_ieee_div_zero 0
		.amdhsa_exception_fp_ieee_overflow 0
		.amdhsa_exception_fp_ieee_underflow 0
		.amdhsa_exception_fp_ieee_inexact 0
		.amdhsa_exception_int_div_zero 0
	.end_amdhsa_kernel
	.text
.Lfunc_end0:
	.size	fft_rtc_back_len2002_factors_2_13_7_11_wgs_182_tpt_182_halfLds_dp_op_CI_CI_sbrr_dirReg, .Lfunc_end0-fft_rtc_back_len2002_factors_2_13_7_11_wgs_182_tpt_182_halfLds_dp_op_CI_CI_sbrr_dirReg
                                        ; -- End function
	.section	.AMDGPU.csdata,"",@progbits
; Kernel info:
; codeLenInByte = 13852
; NumSgprs: 56
; NumVgprs: 224
; NumAgprs: 0
; TotalNumVgprs: 224
; ScratchSize: 0
; MemoryBound: 1
; FloatMode: 240
; IeeeMode: 1
; LDSByteSize: 0 bytes/workgroup (compile time only)
; SGPRBlocks: 6
; VGPRBlocks: 27
; NumSGPRsForWavesPerEU: 56
; NumVGPRsForWavesPerEU: 224
; AccumOffset: 224
; Occupancy: 2
; WaveLimiterHint : 1
; COMPUTE_PGM_RSRC2:SCRATCH_EN: 0
; COMPUTE_PGM_RSRC2:USER_SGPR: 2
; COMPUTE_PGM_RSRC2:TRAP_HANDLER: 0
; COMPUTE_PGM_RSRC2:TGID_X_EN: 1
; COMPUTE_PGM_RSRC2:TGID_Y_EN: 0
; COMPUTE_PGM_RSRC2:TGID_Z_EN: 0
; COMPUTE_PGM_RSRC2:TIDIG_COMP_CNT: 0
; COMPUTE_PGM_RSRC3_GFX90A:ACCUM_OFFSET: 55
; COMPUTE_PGM_RSRC3_GFX90A:TG_SPLIT: 0
	.text
	.p2alignl 6, 3212836864
	.fill 256, 4, 3212836864
	.type	__hip_cuid_4911ef8b1a0d1dd5,@object ; @__hip_cuid_4911ef8b1a0d1dd5
	.section	.bss,"aw",@nobits
	.globl	__hip_cuid_4911ef8b1a0d1dd5
__hip_cuid_4911ef8b1a0d1dd5:
	.byte	0                               ; 0x0
	.size	__hip_cuid_4911ef8b1a0d1dd5, 1

	.ident	"AMD clang version 19.0.0git (https://github.com/RadeonOpenCompute/llvm-project roc-6.4.0 25133 c7fe45cf4b819c5991fe208aaa96edf142730f1d)"
	.section	".note.GNU-stack","",@progbits
	.addrsig
	.addrsig_sym __hip_cuid_4911ef8b1a0d1dd5
	.amdgpu_metadata
---
amdhsa.kernels:
  - .agpr_count:     0
    .args:
      - .actual_access:  read_only
        .address_space:  global
        .offset:         0
        .size:           8
        .value_kind:     global_buffer
      - .offset:         8
        .size:           8
        .value_kind:     by_value
      - .actual_access:  read_only
        .address_space:  global
        .offset:         16
        .size:           8
        .value_kind:     global_buffer
      - .actual_access:  read_only
        .address_space:  global
        .offset:         24
        .size:           8
        .value_kind:     global_buffer
      - .actual_access:  read_only
        .address_space:  global
        .offset:         32
        .size:           8
        .value_kind:     global_buffer
      - .offset:         40
        .size:           8
        .value_kind:     by_value
      - .actual_access:  read_only
        .address_space:  global
        .offset:         48
        .size:           8
        .value_kind:     global_buffer
      - .actual_access:  read_only
        .address_space:  global
        .offset:         56
        .size:           8
        .value_kind:     global_buffer
      - .offset:         64
        .size:           4
        .value_kind:     by_value
      - .actual_access:  read_only
        .address_space:  global
        .offset:         72
        .size:           8
        .value_kind:     global_buffer
      - .actual_access:  read_only
        .address_space:  global
        .offset:         80
        .size:           8
        .value_kind:     global_buffer
      - .actual_access:  read_only
        .address_space:  global
        .offset:         88
        .size:           8
        .value_kind:     global_buffer
      - .actual_access:  write_only
        .address_space:  global
        .offset:         96
        .size:           8
        .value_kind:     global_buffer
    .group_segment_fixed_size: 0
    .kernarg_segment_align: 8
    .kernarg_segment_size: 104
    .language:       OpenCL C
    .language_version:
      - 2
      - 0
    .max_flat_workgroup_size: 182
    .name:           fft_rtc_back_len2002_factors_2_13_7_11_wgs_182_tpt_182_halfLds_dp_op_CI_CI_sbrr_dirReg
    .private_segment_fixed_size: 0
    .sgpr_count:     56
    .sgpr_spill_count: 0
    .symbol:         fft_rtc_back_len2002_factors_2_13_7_11_wgs_182_tpt_182_halfLds_dp_op_CI_CI_sbrr_dirReg.kd
    .uniform_work_group_size: 1
    .uses_dynamic_stack: false
    .vgpr_count:     224
    .vgpr_spill_count: 0
    .wavefront_size: 64
amdhsa.target:   amdgcn-amd-amdhsa--gfx950
amdhsa.version:
  - 1
  - 2
...

	.end_amdgpu_metadata
